;; amdgpu-corpus repo=ROCm/rocFFT kind=compiled arch=gfx906 opt=O3
	.text
	.amdgcn_target "amdgcn-amd-amdhsa--gfx906"
	.amdhsa_code_object_version 6
	.protected	fft_rtc_fwd_len676_factors_13_13_4_wgs_52_tpt_52_dp_ip_CI_sbrr_dirReg ; -- Begin function fft_rtc_fwd_len676_factors_13_13_4_wgs_52_tpt_52_dp_ip_CI_sbrr_dirReg
	.globl	fft_rtc_fwd_len676_factors_13_13_4_wgs_52_tpt_52_dp_ip_CI_sbrr_dirReg
	.p2align	8
	.type	fft_rtc_fwd_len676_factors_13_13_4_wgs_52_tpt_52_dp_ip_CI_sbrr_dirReg,@function
fft_rtc_fwd_len676_factors_13_13_4_wgs_52_tpt_52_dp_ip_CI_sbrr_dirReg: ; @fft_rtc_fwd_len676_factors_13_13_4_wgs_52_tpt_52_dp_ip_CI_sbrr_dirReg
; %bb.0:
	s_load_dwordx2 s[14:15], s[4:5], 0x18
	s_load_dwordx4 s[8:11], s[4:5], 0x0
	s_load_dwordx2 s[12:13], s[4:5], 0x50
	v_mul_u32_u24_e32 v1, 0x4ed, v0
	v_add_u32_sdwa v5, s6, v1 dst_sel:DWORD dst_unused:UNUSED_PAD src0_sel:DWORD src1_sel:WORD_1
	s_waitcnt lgkmcnt(0)
	s_load_dwordx2 s[2:3], s[14:15], 0x0
	v_cmp_lt_u64_e64 s[0:1], s[10:11], 2
	v_mov_b32_e32 v3, 0
	v_mov_b32_e32 v1, 0
	;; [unrolled: 1-line block ×3, first 2 shown]
	s_and_b64 vcc, exec, s[0:1]
	v_mov_b32_e32 v2, 0
	s_cbranch_vccnz .LBB0_8
; %bb.1:
	s_load_dwordx2 s[0:1], s[4:5], 0x10
	s_add_u32 s6, s14, 8
	s_addc_u32 s7, s15, 0
	v_mov_b32_e32 v1, 0
	v_mov_b32_e32 v2, 0
	s_waitcnt lgkmcnt(0)
	s_add_u32 s16, s0, 8
	s_addc_u32 s17, s1, 0
	s_mov_b64 s[18:19], 1
.LBB0_2:                                ; =>This Inner Loop Header: Depth=1
	s_load_dwordx2 s[20:21], s[16:17], 0x0
                                        ; implicit-def: $vgpr7_vgpr8
	s_waitcnt lgkmcnt(0)
	v_or_b32_e32 v4, s21, v6
	v_cmp_ne_u64_e32 vcc, 0, v[3:4]
	s_and_saveexec_b64 s[0:1], vcc
	s_xor_b64 s[22:23], exec, s[0:1]
	s_cbranch_execz .LBB0_4
; %bb.3:                                ;   in Loop: Header=BB0_2 Depth=1
	v_cvt_f32_u32_e32 v4, s20
	v_cvt_f32_u32_e32 v7, s21
	s_sub_u32 s0, 0, s20
	s_subb_u32 s1, 0, s21
	v_mac_f32_e32 v4, 0x4f800000, v7
	v_rcp_f32_e32 v4, v4
	v_mul_f32_e32 v4, 0x5f7ffffc, v4
	v_mul_f32_e32 v7, 0x2f800000, v4
	v_trunc_f32_e32 v7, v7
	v_mac_f32_e32 v4, 0xcf800000, v7
	v_cvt_u32_f32_e32 v7, v7
	v_cvt_u32_f32_e32 v4, v4
	v_mul_lo_u32 v8, s0, v7
	v_mul_hi_u32 v9, s0, v4
	v_mul_lo_u32 v11, s1, v4
	v_mul_lo_u32 v10, s0, v4
	v_add_u32_e32 v8, v9, v8
	v_add_u32_e32 v8, v8, v11
	v_mul_hi_u32 v9, v4, v10
	v_mul_lo_u32 v11, v4, v8
	v_mul_hi_u32 v13, v4, v8
	v_mul_hi_u32 v12, v7, v10
	v_mul_lo_u32 v10, v7, v10
	v_mul_hi_u32 v14, v7, v8
	v_add_co_u32_e32 v9, vcc, v9, v11
	v_addc_co_u32_e32 v11, vcc, 0, v13, vcc
	v_mul_lo_u32 v8, v7, v8
	v_add_co_u32_e32 v9, vcc, v9, v10
	v_addc_co_u32_e32 v9, vcc, v11, v12, vcc
	v_addc_co_u32_e32 v10, vcc, 0, v14, vcc
	v_add_co_u32_e32 v8, vcc, v9, v8
	v_addc_co_u32_e32 v9, vcc, 0, v10, vcc
	v_add_co_u32_e32 v4, vcc, v4, v8
	v_addc_co_u32_e32 v7, vcc, v7, v9, vcc
	v_mul_lo_u32 v8, s0, v7
	v_mul_hi_u32 v9, s0, v4
	v_mul_lo_u32 v10, s1, v4
	v_mul_lo_u32 v11, s0, v4
	v_add_u32_e32 v8, v9, v8
	v_add_u32_e32 v8, v8, v10
	v_mul_lo_u32 v12, v4, v8
	v_mul_hi_u32 v13, v4, v11
	v_mul_hi_u32 v14, v4, v8
	;; [unrolled: 1-line block ×3, first 2 shown]
	v_mul_lo_u32 v11, v7, v11
	v_mul_hi_u32 v9, v7, v8
	v_add_co_u32_e32 v12, vcc, v13, v12
	v_addc_co_u32_e32 v13, vcc, 0, v14, vcc
	v_mul_lo_u32 v8, v7, v8
	v_add_co_u32_e32 v11, vcc, v12, v11
	v_addc_co_u32_e32 v10, vcc, v13, v10, vcc
	v_addc_co_u32_e32 v9, vcc, 0, v9, vcc
	v_add_co_u32_e32 v8, vcc, v10, v8
	v_addc_co_u32_e32 v9, vcc, 0, v9, vcc
	v_add_co_u32_e32 v4, vcc, v4, v8
	v_addc_co_u32_e32 v9, vcc, v7, v9, vcc
	v_mad_u64_u32 v[7:8], s[0:1], v5, v9, 0
	v_mul_hi_u32 v10, v5, v4
	v_add_co_u32_e32 v11, vcc, v10, v7
	v_addc_co_u32_e32 v12, vcc, 0, v8, vcc
	v_mad_u64_u32 v[7:8], s[0:1], v6, v4, 0
	v_mad_u64_u32 v[9:10], s[0:1], v6, v9, 0
	v_add_co_u32_e32 v4, vcc, v11, v7
	v_addc_co_u32_e32 v4, vcc, v12, v8, vcc
	v_addc_co_u32_e32 v7, vcc, 0, v10, vcc
	v_add_co_u32_e32 v4, vcc, v4, v9
	v_addc_co_u32_e32 v9, vcc, 0, v7, vcc
	v_mul_lo_u32 v10, s21, v4
	v_mul_lo_u32 v11, s20, v9
	v_mad_u64_u32 v[7:8], s[0:1], s20, v4, 0
	v_add3_u32 v8, v8, v11, v10
	v_sub_u32_e32 v10, v6, v8
	v_mov_b32_e32 v11, s21
	v_sub_co_u32_e32 v7, vcc, v5, v7
	v_subb_co_u32_e64 v10, s[0:1], v10, v11, vcc
	v_subrev_co_u32_e64 v11, s[0:1], s20, v7
	v_subbrev_co_u32_e64 v10, s[0:1], 0, v10, s[0:1]
	v_cmp_le_u32_e64 s[0:1], s21, v10
	v_cndmask_b32_e64 v12, 0, -1, s[0:1]
	v_cmp_le_u32_e64 s[0:1], s20, v11
	v_cndmask_b32_e64 v11, 0, -1, s[0:1]
	v_cmp_eq_u32_e64 s[0:1], s21, v10
	v_cndmask_b32_e64 v10, v12, v11, s[0:1]
	v_add_co_u32_e64 v11, s[0:1], 2, v4
	v_addc_co_u32_e64 v12, s[0:1], 0, v9, s[0:1]
	v_add_co_u32_e64 v13, s[0:1], 1, v4
	v_addc_co_u32_e64 v14, s[0:1], 0, v9, s[0:1]
	v_subb_co_u32_e32 v8, vcc, v6, v8, vcc
	v_cmp_ne_u32_e64 s[0:1], 0, v10
	v_cmp_le_u32_e32 vcc, s21, v8
	v_cndmask_b32_e64 v10, v14, v12, s[0:1]
	v_cndmask_b32_e64 v12, 0, -1, vcc
	v_cmp_le_u32_e32 vcc, s20, v7
	v_cndmask_b32_e64 v7, 0, -1, vcc
	v_cmp_eq_u32_e32 vcc, s21, v8
	v_cndmask_b32_e32 v7, v12, v7, vcc
	v_cmp_ne_u32_e32 vcc, 0, v7
	v_cndmask_b32_e64 v7, v13, v11, s[0:1]
	v_cndmask_b32_e32 v8, v9, v10, vcc
	v_cndmask_b32_e32 v7, v4, v7, vcc
.LBB0_4:                                ;   in Loop: Header=BB0_2 Depth=1
	s_andn2_saveexec_b64 s[0:1], s[22:23]
	s_cbranch_execz .LBB0_6
; %bb.5:                                ;   in Loop: Header=BB0_2 Depth=1
	v_cvt_f32_u32_e32 v4, s20
	s_sub_i32 s22, 0, s20
	v_rcp_iflag_f32_e32 v4, v4
	v_mul_f32_e32 v4, 0x4f7ffffe, v4
	v_cvt_u32_f32_e32 v4, v4
	v_mul_lo_u32 v7, s22, v4
	v_mul_hi_u32 v7, v4, v7
	v_add_u32_e32 v4, v4, v7
	v_mul_hi_u32 v4, v5, v4
	v_mul_lo_u32 v7, v4, s20
	v_add_u32_e32 v8, 1, v4
	v_sub_u32_e32 v7, v5, v7
	v_subrev_u32_e32 v9, s20, v7
	v_cmp_le_u32_e32 vcc, s20, v7
	v_cndmask_b32_e32 v7, v7, v9, vcc
	v_cndmask_b32_e32 v4, v4, v8, vcc
	v_add_u32_e32 v8, 1, v4
	v_cmp_le_u32_e32 vcc, s20, v7
	v_cndmask_b32_e32 v7, v4, v8, vcc
	v_mov_b32_e32 v8, v3
.LBB0_6:                                ;   in Loop: Header=BB0_2 Depth=1
	s_or_b64 exec, exec, s[0:1]
	v_mul_lo_u32 v4, v8, s20
	v_mul_lo_u32 v11, v7, s21
	v_mad_u64_u32 v[9:10], s[0:1], v7, s20, 0
	s_load_dwordx2 s[0:1], s[6:7], 0x0
	s_add_u32 s18, s18, 1
	v_add3_u32 v4, v10, v11, v4
	v_sub_co_u32_e32 v5, vcc, v5, v9
	v_subb_co_u32_e32 v4, vcc, v6, v4, vcc
	s_waitcnt lgkmcnt(0)
	v_mul_lo_u32 v4, s0, v4
	v_mul_lo_u32 v6, s1, v5
	v_mad_u64_u32 v[1:2], s[0:1], s0, v5, v[1:2]
	s_addc_u32 s19, s19, 0
	s_add_u32 s6, s6, 8
	v_add3_u32 v2, v6, v2, v4
	v_mov_b32_e32 v4, s10
	v_mov_b32_e32 v5, s11
	s_addc_u32 s7, s7, 0
	v_cmp_ge_u64_e32 vcc, s[18:19], v[4:5]
	s_add_u32 s16, s16, 8
	s_addc_u32 s17, s17, 0
	s_cbranch_vccnz .LBB0_9
; %bb.7:                                ;   in Loop: Header=BB0_2 Depth=1
	v_mov_b32_e32 v5, v7
	v_mov_b32_e32 v6, v8
	s_branch .LBB0_2
.LBB0_8:
	v_mov_b32_e32 v8, v6
	v_mov_b32_e32 v7, v5
.LBB0_9:
	s_lshl_b64 s[0:1], s[10:11], 3
	s_add_u32 s0, s14, s0
	s_addc_u32 s1, s15, s1
	s_load_dwordx2 s[6:7], s[0:1], 0x0
	s_load_dwordx2 s[10:11], s[4:5], 0x20
                                        ; implicit-def: $vgpr79
                                        ; implicit-def: $vgpr74
                                        ; implicit-def: $vgpr77
	s_waitcnt lgkmcnt(0)
	v_mad_u64_u32 v[1:2], s[0:1], s6, v7, v[1:2]
	s_mov_b32 s0, 0x4ec4ec5
	v_mul_lo_u32 v3, s6, v8
	v_mul_lo_u32 v4, s7, v7
	v_mul_hi_u32 v5, v0, s0
	v_cmp_gt_u64_e32 vcc, s[10:11], v[7:8]
	v_cmp_le_u64_e64 s[0:1], s[10:11], v[7:8]
	v_add3_u32 v2, v4, v2, v3
	v_mul_u32_u24_e32 v3, 52, v5
	v_sub_u32_e32 v76, v0, v3
	v_add_u32_e32 v78, 52, v76
	s_and_saveexec_b64 s[4:5], s[0:1]
	s_xor_b64 s[0:1], exec, s[4:5]
; %bb.10:
	v_add_u32_e32 v79, 52, v76
	v_add_u32_e32 v74, 0x68, v76
	;; [unrolled: 1-line block ×3, first 2 shown]
; %bb.11:
	s_or_saveexec_b64 s[4:5], s[0:1]
	v_lshlrev_b64 v[72:73], 4, v[1:2]
                                        ; implicit-def: $vgpr50_vgpr51
                                        ; implicit-def: $vgpr42_vgpr43
                                        ; implicit-def: $vgpr14_vgpr15
                                        ; implicit-def: $vgpr6_vgpr7
                                        ; implicit-def: $vgpr22_vgpr23
                                        ; implicit-def: $vgpr34_vgpr35
                                        ; implicit-def: $vgpr2_vgpr3
                                        ; implicit-def: $vgpr46_vgpr47
                                        ; implicit-def: $vgpr18_vgpr19
                                        ; implicit-def: $vgpr10_vgpr11
                                        ; implicit-def: $vgpr26_vgpr27
                                        ; implicit-def: $vgpr30_vgpr31
                                        ; implicit-def: $vgpr38_vgpr39
	s_xor_b64 exec, exec, s[4:5]
	s_cbranch_execz .LBB0_13
; %bb.12:
	v_mad_u64_u32 v[0:1], s[0:1], s2, v76, 0
	v_mov_b32_e32 v4, s13
	v_add_u32_e32 v74, 0x68, v76
	v_mad_u64_u32 v[1:2], s[0:1], s3, v76, v[1:2]
	v_mad_u64_u32 v[2:3], s[0:1], s2, v78, 0
	v_add_co_u32_e64 v8, s[0:1], s12, v72
	v_addc_co_u32_e64 v9, s[0:1], v4, v73, s[0:1]
	v_mad_u64_u32 v[3:4], s[0:1], s3, v78, v[3:4]
	v_mad_u64_u32 v[4:5], s[0:1], s2, v74, 0
	v_lshlrev_b64 v[0:1], 4, v[0:1]
	v_add_u32_e32 v77, 0x9c, v76
	v_add_co_u32_e64 v52, s[0:1], v8, v0
	v_addc_co_u32_e64 v53, s[0:1], v9, v1, s[0:1]
	v_lshlrev_b64 v[0:1], 4, v[2:3]
	v_mov_b32_e32 v2, v5
	v_mad_u64_u32 v[2:3], s[0:1], s3, v74, v[2:3]
	v_mad_u64_u32 v[6:7], s[0:1], s2, v77, 0
	v_add_co_u32_e64 v54, s[0:1], v8, v0
	v_mov_b32_e32 v5, v2
	v_mov_b32_e32 v2, v7
	v_addc_co_u32_e64 v55, s[0:1], v9, v1, s[0:1]
	v_lshlrev_b64 v[0:1], 4, v[4:5]
	v_mad_u64_u32 v[2:3], s[0:1], s3, v77, v[2:3]
	v_add_u32_e32 v5, 0xd0, v76
	v_mad_u64_u32 v[3:4], s[0:1], s2, v5, 0
	v_add_co_u32_e64 v56, s[0:1], v8, v0
	v_mov_b32_e32 v7, v2
	v_mov_b32_e32 v2, v4
	v_addc_co_u32_e64 v57, s[0:1], v9, v1, s[0:1]
	v_lshlrev_b64 v[0:1], 4, v[6:7]
	v_mad_u64_u32 v[4:5], s[0:1], s3, v5, v[2:3]
	v_add_u32_e32 v7, 0x104, v76
	v_mad_u64_u32 v[5:6], s[0:1], s2, v7, 0
	v_add_co_u32_e64 v58, s[0:1], v8, v0
	v_mov_b32_e32 v2, v6
	v_addc_co_u32_e64 v59, s[0:1], v9, v1, s[0:1]
	v_lshlrev_b64 v[0:1], 4, v[3:4]
	v_mad_u64_u32 v[2:3], s[0:1], s3, v7, v[2:3]
	v_add_u32_e32 v7, 0x138, v76
	v_mad_u64_u32 v[3:4], s[0:1], s2, v7, 0
	v_add_co_u32_e64 v60, s[0:1], v8, v0
	v_mov_b32_e32 v6, v2
	v_mov_b32_e32 v2, v4
	v_addc_co_u32_e64 v61, s[0:1], v9, v1, s[0:1]
	v_lshlrev_b64 v[0:1], 4, v[5:6]
	v_mad_u64_u32 v[4:5], s[0:1], s3, v7, v[2:3]
	v_add_u32_e32 v7, 0x16c, v76
	v_mad_u64_u32 v[5:6], s[0:1], s2, v7, 0
	v_add_co_u32_e64 v62, s[0:1], v8, v0
	;; [unrolled: 15-line block ×4, first 2 shown]
	v_mov_b32_e32 v2, v6
	v_addc_co_u32_e64 v71, s[0:1], v9, v1, s[0:1]
	v_lshlrev_b64 v[0:1], 4, v[3:4]
	v_mad_u64_u32 v[2:3], s[0:1], s3, v7, v[2:3]
	v_add_u32_e32 v7, 0x270, v76
	v_mad_u64_u32 v[3:4], s[0:1], s2, v7, 0
	v_add_co_u32_e64 v79, s[0:1], v8, v0
	v_mov_b32_e32 v6, v2
	v_mov_b32_e32 v2, v4
	v_addc_co_u32_e64 v80, s[0:1], v9, v1, s[0:1]
	v_lshlrev_b64 v[0:1], 4, v[5:6]
	v_mad_u64_u32 v[4:5], s[0:1], s3, v7, v[2:3]
	v_add_co_u32_e64 v81, s[0:1], v8, v0
	v_addc_co_u32_e64 v82, s[0:1], v9, v1, s[0:1]
	v_lshlrev_b64 v[0:1], 4, v[3:4]
	v_add_co_u32_e64 v83, s[0:1], v8, v0
	v_addc_co_u32_e64 v84, s[0:1], v9, v1, s[0:1]
	global_load_dwordx4 v[36:39], v[52:53], off
	global_load_dwordx4 v[48:51], v[54:55], off
	;; [unrolled: 1-line block ×13, first 2 shown]
	v_mov_b32_e32 v79, v78
.LBB0_13:
	s_or_b64 exec, exec, s[4:5]
	s_waitcnt vmcnt(11)
	v_add_f64 v[52:53], v[48:49], v[36:37]
	v_add_f64 v[54:55], v[50:51], v[38:39]
	s_waitcnt vmcnt(0)
	v_add_f64 v[56:57], v[48:49], v[0:1]
	v_add_f64 v[48:49], v[48:49], -v[0:1]
	s_mov_b32 s18, 0xe00740e9
	s_mov_b32 s22, 0x4267c47c
	;; [unrolled: 1-line block ×4, first 2 shown]
	v_add_f64 v[52:53], v[40:41], v[52:53]
	v_add_f64 v[54:55], v[42:43], v[54:55]
	s_mov_b32 s19, 0x3fec55a7
	s_mov_b32 s23, 0x3fddbe06
	;; [unrolled: 1-line block ×6, first 2 shown]
	v_add_f64 v[52:53], v[28:29], v[52:53]
	v_add_f64 v[54:55], v[30:31], v[54:55]
	s_mov_b32 s42, s22
	s_mov_b32 s24, s38
	v_add_f64 v[58:59], v[50:51], v[2:3]
	v_add_f64 v[50:51], v[50:51], -v[2:3]
	v_mul_f64 v[60:61], v[56:57], s[18:19]
	v_mul_f64 v[62:63], v[48:49], s[42:43]
	v_add_f64 v[52:53], v[24:25], v[52:53]
	v_add_f64 v[54:55], v[26:27], v[54:55]
	v_mul_f64 v[84:85], v[56:57], s[20:21]
	v_mul_f64 v[86:87], v[48:49], s[24:25]
	v_add_f64 v[104:105], v[40:41], v[44:45]
	v_add_f64 v[40:41], v[40:41], -v[44:45]
	s_mov_b32 s10, 0x1ea71119
	s_mov_b32 s16, 0x42a4c3d2
	v_add_f64 v[52:53], v[12:13], v[52:53]
	v_add_f64 v[54:55], v[14:15], v[54:55]
	s_mov_b32 s0, 0xebaa3ed8
	s_mov_b32 s4, 0x66966769
	s_mov_b32 s6, 0xb2365da1
	s_mov_b32 s40, 0x2ef20147
	s_mov_b32 s26, 0x93053d00
	s_mov_b32 s34, 0x4bc48dbf
	v_add_f64 v[52:53], v[4:5], v[52:53]
	v_add_f64 v[54:55], v[6:7], v[54:55]
	s_mov_b32 s11, 0x3fe22d96
	s_mov_b32 s17, 0x3fea55e2
	s_mov_b32 s31, 0xbfea55e2
	s_mov_b32 s1, 0x3fbedb7d
	;; [unrolled: 8-line block ×4, first 2 shown]
	v_mul_f64 v[64:65], v[56:57], s[10:11]
	v_mul_f64 v[66:67], v[48:49], s[30:31]
	v_add_f64 v[52:53], v[20:21], v[52:53]
	v_add_f64 v[54:55], v[22:23], v[54:55]
	v_mul_f64 v[68:69], v[56:57], s[0:1]
	v_mul_f64 v[70:71], v[48:49], s[36:37]
	;; [unrolled: 1-line block ×4, first 2 shown]
	v_fma_f64 v[88:89], v[50:51], s[22:23], v[60:61]
	v_fma_f64 v[90:91], v[58:59], s[18:19], v[62:63]
	v_add_f64 v[52:53], v[32:33], v[52:53]
	v_add_f64 v[54:55], v[34:35], v[54:55]
	v_fma_f64 v[100:101], v[50:51], s[38:39], v[84:85]
	v_fma_f64 v[102:103], v[58:59], s[20:21], v[86:87]
	v_mul_f64 v[56:57], v[56:57], s[26:27]
	v_mul_f64 v[106:107], v[40:41], s[30:31]
	v_fma_f64 v[60:61], v[50:51], s[42:43], v[60:61]
	v_fma_f64 v[62:63], v[58:59], s[18:19], -v[62:63]
	v_add_f64 v[52:53], v[44:45], v[52:53]
	v_add_f64 v[54:55], v[46:47], v[54:55]
	v_mul_f64 v[44:45], v[48:49], s[28:29]
	v_fma_f64 v[48:49], v[50:51], s[24:25], v[84:85]
	v_fma_f64 v[84:85], v[58:59], s[20:21], -v[86:87]
	v_add_f64 v[86:87], v[42:43], v[46:47]
	v_add_f64 v[42:43], v[42:43], -v[46:47]
	v_mul_f64 v[46:47], v[104:105], s[10:11]
	v_fma_f64 v[92:93], v[50:51], s[16:17], v[64:65]
	v_fma_f64 v[94:95], v[58:59], s[10:11], v[66:67]
	;; [unrolled: 1-line block ×3, first 2 shown]
	v_fma_f64 v[66:67], v[58:59], s[10:11], -v[66:67]
	v_fma_f64 v[96:97], v[50:51], s[4:5], v[68:69]
	v_fma_f64 v[98:99], v[58:59], s[0:1], v[70:71]
	;; [unrolled: 1-line block ×3, first 2 shown]
	v_add_f64 v[88:89], v[88:89], v[36:37]
	v_add_f64 v[90:91], v[90:91], v[38:39]
	v_add_f64 v[0:1], v[0:1], v[52:53]
	v_add_f64 v[2:3], v[2:3], v[54:55]
	v_fma_f64 v[52:53], v[58:59], s[0:1], -v[70:71]
	v_fma_f64 v[54:55], v[50:51], s[40:41], v[80:81]
	v_fma_f64 v[70:71], v[58:59], s[6:7], v[82:83]
	v_fma_f64 v[80:81], v[50:51], s[14:15], v[80:81]
	v_fma_f64 v[82:83], v[58:59], s[6:7], -v[82:83]
	v_fma_f64 v[108:109], v[50:51], s[34:35], v[56:57]
	v_fma_f64 v[110:111], v[58:59], s[26:27], v[44:45]
	;; [unrolled: 1-line block ×3, first 2 shown]
	v_fma_f64 v[44:45], v[58:59], s[26:27], -v[44:45]
	v_add_f64 v[56:57], v[84:85], v[38:39]
	v_fma_f64 v[58:59], v[42:43], s[16:17], v[46:47]
	v_fma_f64 v[84:85], v[86:87], s[10:11], v[106:107]
	v_add_f64 v[60:61], v[60:61], v[36:37]
	v_add_f64 v[62:63], v[62:63], v[38:39]
	;; [unrolled: 1-line block ×21, first 2 shown]
	v_mul_f64 v[44:45], v[104:105], s[6:7]
	v_mul_f64 v[50:51], v[40:41], s[14:15]
	v_add_f64 v[58:59], v[58:59], v[88:89]
	v_add_f64 v[84:85], v[84:85], v[90:91]
	v_fma_f64 v[46:47], v[42:43], s[30:31], v[46:47]
	v_fma_f64 v[88:89], v[86:87], s[10:11], -v[106:107]
	v_mul_f64 v[90:91], v[104:105], s[26:27]
	v_mul_f64 v[106:107], v[40:41], s[28:29]
	v_fma_f64 v[112:113], v[42:43], s[40:41], v[44:45]
	v_fma_f64 v[114:115], v[86:87], s[6:7], v[50:51]
	;; [unrolled: 1-line block ×3, first 2 shown]
	v_fma_f64 v[50:51], v[86:87], s[6:7], -v[50:51]
	v_add_f64 v[46:47], v[46:47], v[60:61]
	v_add_f64 v[60:61], v[88:89], v[62:63]
	v_fma_f64 v[62:63], v[42:43], s[34:35], v[90:91]
	v_fma_f64 v[88:89], v[86:87], s[26:27], v[106:107]
	;; [unrolled: 1-line block ×3, first 2 shown]
	v_add_f64 v[92:93], v[112:113], v[92:93]
	v_add_f64 v[44:45], v[44:45], v[64:65]
	;; [unrolled: 1-line block ×3, first 2 shown]
	v_mul_f64 v[64:65], v[104:105], s[20:21]
	v_mul_f64 v[66:67], v[40:41], s[38:39]
	v_add_f64 v[62:63], v[62:63], v[96:97]
	v_add_f64 v[88:89], v[88:89], v[98:99]
	v_mul_f64 v[96:97], v[104:105], s[0:1]
	v_mul_f64 v[98:99], v[40:41], s[4:5]
	v_add_f64 v[94:95], v[114:115], v[94:95]
	v_add_f64 v[68:69], v[90:91], v[68:69]
	v_fma_f64 v[112:113], v[42:43], s[24:25], v[64:65]
	v_fma_f64 v[114:115], v[86:87], s[20:21], v[66:67]
	;; [unrolled: 1-line block ×3, first 2 shown]
	v_fma_f64 v[66:67], v[86:87], s[20:21], -v[66:67]
	v_fma_f64 v[116:117], v[42:43], s[36:37], v[96:97]
	v_fma_f64 v[118:119], v[86:87], s[0:1], v[98:99]
	v_add_f64 v[90:91], v[32:33], v[28:29]
	v_add_f64 v[28:29], v[28:29], -v[32:33]
	v_fma_f64 v[106:107], v[86:87], s[26:27], -v[106:107]
	v_mul_f64 v[32:33], v[104:105], s[18:19]
	v_add_f64 v[64:65], v[64:65], v[80:81]
	v_add_f64 v[66:67], v[66:67], v[82:83]
	;; [unrolled: 1-line block ×4, first 2 shown]
	v_mul_f64 v[40:41], v[40:41], s[22:23]
	v_fma_f64 v[96:97], v[42:43], s[4:5], v[96:97]
	v_fma_f64 v[98:99], v[86:87], s[0:1], -v[98:99]
	v_add_f64 v[100:101], v[34:35], v[30:31]
	v_add_f64 v[30:31], v[30:31], -v[34:35]
	v_mul_f64 v[34:35], v[90:91], s[0:1]
	v_mul_f64 v[102:103], v[28:29], s[36:37]
	v_add_f64 v[52:53], v[106:107], v[52:53]
	v_fma_f64 v[104:105], v[42:43], s[42:43], v[32:33]
	v_fma_f64 v[106:107], v[86:87], s[18:19], v[40:41]
	;; [unrolled: 1-line block ×3, first 2 shown]
	v_fma_f64 v[40:41], v[86:87], s[18:19], -v[40:41]
	v_add_f64 v[42:43], v[96:97], v[48:49]
	v_add_f64 v[48:49], v[98:99], v[56:57]
	v_fma_f64 v[56:57], v[30:31], s[4:5], v[34:35]
	v_fma_f64 v[86:87], v[100:101], s[0:1], v[102:103]
	;; [unrolled: 1-line block ×3, first 2 shown]
	v_add_f64 v[96:97], v[104:105], v[108:109]
	v_add_f64 v[32:33], v[32:33], v[36:37]
	;; [unrolled: 1-line block ×3, first 2 shown]
	v_mul_f64 v[38:39], v[90:91], s[26:27]
	v_mul_f64 v[40:41], v[28:29], s[28:29]
	v_add_f64 v[56:57], v[56:57], v[58:59]
	v_add_f64 v[58:59], v[86:87], v[84:85]
	v_fma_f64 v[84:85], v[100:101], s[0:1], -v[102:103]
	v_mul_f64 v[86:87], v[90:91], s[6:7]
	v_mul_f64 v[102:103], v[28:29], s[40:41]
	v_add_f64 v[34:35], v[34:35], v[46:47]
	v_fma_f64 v[104:105], v[30:31], s[34:35], v[38:39]
	v_fma_f64 v[38:39], v[30:31], s[28:29], v[38:39]
	v_add_f64 v[98:99], v[106:107], v[110:111]
	v_fma_f64 v[106:107], v[100:101], s[26:27], v[40:41]
	v_add_f64 v[46:47], v[84:85], v[60:61]
	v_fma_f64 v[60:61], v[30:31], s[14:15], v[86:87]
	v_fma_f64 v[84:85], v[100:101], s[6:7], v[102:103]
	v_fma_f64 v[40:41], v[100:101], s[26:27], -v[40:41]
	v_add_f64 v[92:93], v[104:105], v[92:93]
	v_add_f64 v[38:39], v[38:39], v[44:45]
	v_mul_f64 v[44:45], v[90:91], s[18:19]
	v_add_f64 v[94:95], v[106:107], v[94:95]
	v_fma_f64 v[86:87], v[30:31], s[40:41], v[86:87]
	v_add_f64 v[60:61], v[60:61], v[62:63]
	v_add_f64 v[62:63], v[84:85], v[88:89]
	v_mul_f64 v[84:85], v[90:91], s[10:11]
	v_add_f64 v[40:41], v[40:41], v[50:51]
	v_mul_f64 v[50:51], v[28:29], s[22:23]
	v_mul_f64 v[88:89], v[28:29], s[30:31]
	v_fma_f64 v[104:105], v[30:31], s[42:43], v[44:45]
	v_fma_f64 v[44:45], v[30:31], s[22:23], v[44:45]
	v_fma_f64 v[102:103], v[100:101], s[6:7], -v[102:103]
	v_mul_f64 v[28:29], v[28:29], s[24:25]
	v_fma_f64 v[108:109], v[30:31], s[16:17], v[84:85]
	v_add_f64 v[68:69], v[86:87], v[68:69]
	v_fma_f64 v[106:107], v[100:101], s[18:19], v[50:51]
	v_fma_f64 v[50:51], v[100:101], s[18:19], -v[50:51]
	v_fma_f64 v[110:111], v[100:101], s[10:11], v[88:89]
	v_add_f64 v[44:45], v[44:45], v[64:65]
	v_add_f64 v[52:53], v[102:103], v[52:53]
	;; [unrolled: 1-line block ×5, first 2 shown]
	v_add_f64 v[20:21], v[24:25], -v[20:21]
	v_mul_f64 v[24:25], v[90:91], s[20:21]
	v_add_f64 v[50:51], v[50:51], v[66:67]
	v_add_f64 v[66:67], v[110:111], v[82:83]
	v_fma_f64 v[82:83], v[30:31], s[30:31], v[84:85]
	v_fma_f64 v[84:85], v[100:101], s[10:11], -v[88:89]
	v_add_f64 v[22:23], v[26:27], -v[22:23]
	v_mul_f64 v[26:27], v[80:81], s[6:7]
	v_mul_f64 v[88:89], v[20:21], s[14:15]
	v_fma_f64 v[90:91], v[30:31], s[38:39], v[24:25]
	v_fma_f64 v[102:103], v[100:101], s[20:21], v[28:29]
	v_fma_f64 v[24:25], v[30:31], s[24:25], v[24:25]
	v_fma_f64 v[28:29], v[100:101], s[20:21], -v[28:29]
	v_add_f64 v[30:31], v[82:83], v[42:43]
	v_add_f64 v[42:43], v[84:85], v[48:49]
	v_fma_f64 v[48:49], v[22:23], s[40:41], v[26:27]
	v_fma_f64 v[82:83], v[86:87], s[6:7], v[88:89]
	v_add_f64 v[84:85], v[90:91], v[96:97]
	v_add_f64 v[90:91], v[102:103], v[98:99]
	;; [unrolled: 1-line block ×4, first 2 shown]
	v_mul_f64 v[32:33], v[80:81], s[20:21]
	v_mul_f64 v[36:37], v[20:21], s[38:39]
	v_add_f64 v[48:49], v[48:49], v[56:57]
	v_add_f64 v[82:83], v[82:83], v[58:59]
	v_fma_f64 v[26:27], v[22:23], s[14:15], v[26:27]
	v_fma_f64 v[56:57], v[86:87], s[6:7], -v[88:89]
	v_mul_f64 v[58:59], v[80:81], s[18:19]
	v_mul_f64 v[88:89], v[20:21], s[22:23]
	v_fma_f64 v[96:97], v[22:23], s[24:25], v[32:33]
	v_fma_f64 v[98:99], v[86:87], s[20:21], v[36:37]
	v_fma_f64 v[36:37], v[86:87], s[20:21], -v[36:37]
	v_fma_f64 v[32:33], v[22:23], s[38:39], v[32:33]
	v_add_f64 v[26:27], v[26:27], v[34:35]
	v_add_f64 v[34:35], v[56:57], v[46:47]
	v_fma_f64 v[46:47], v[22:23], s[42:43], v[58:59]
	v_add_f64 v[54:55], v[112:113], v[54:55]
	v_add_f64 v[92:93], v[96:97], v[92:93]
	v_fma_f64 v[56:57], v[86:87], s[18:19], v[88:89]
	v_add_f64 v[96:97], v[36:37], v[40:41]
	v_mul_f64 v[36:37], v[80:81], s[0:1]
	v_add_f64 v[94:95], v[98:99], v[94:95]
	v_add_f64 v[32:33], v[32:33], v[38:39]
	v_mul_f64 v[38:39], v[20:21], s[36:37]
	v_add_f64 v[98:99], v[46:47], v[60:61]
	v_add_f64 v[70:71], v[114:115], v[70:71]
	;; [unrolled: 1-line block ×4, first 2 shown]
	v_fma_f64 v[60:61], v[22:23], s[4:5], v[36:37]
	v_fma_f64 v[36:37], v[22:23], s[36:37], v[36:37]
	;; [unrolled: 1-line block ×3, first 2 shown]
	v_fma_f64 v[46:47], v[86:87], s[18:19], -v[88:89]
	v_mul_f64 v[56:57], v[80:81], s[26:27]
	v_mul_f64 v[58:59], v[20:21], s[34:35]
	v_fma_f64 v[62:63], v[86:87], s[0:1], v[38:39]
	v_fma_f64 v[38:39], v[86:87], s[0:1], -v[38:39]
	v_mul_f64 v[20:21], v[20:21], s[16:17]
	v_add_f64 v[104:105], v[36:37], v[44:45]
	v_mul_f64 v[36:37], v[80:81], s[10:11]
	v_add_f64 v[80:81], v[12:13], v[16:17]
	v_add_f64 v[12:13], v[12:13], -v[16:17]
	v_add_f64 v[70:71], v[106:107], v[70:71]
	v_add_f64 v[68:69], v[40:41], v[68:69]
	;; [unrolled: 1-line block ×3, first 2 shown]
	v_fma_f64 v[40:41], v[22:23], s[28:29], v[56:57]
	v_fma_f64 v[46:47], v[86:87], s[26:27], v[58:59]
	v_add_f64 v[106:107], v[38:39], v[50:51]
	v_fma_f64 v[16:17], v[22:23], s[34:35], v[56:57]
	v_fma_f64 v[38:39], v[86:87], s[26:27], -v[58:59]
	v_add_f64 v[56:57], v[14:15], v[18:19]
	v_add_f64 v[58:59], v[14:15], -v[18:19]
	v_mul_f64 v[18:19], v[12:13], s[24:25]
	v_fma_f64 v[44:45], v[86:87], s[10:11], v[20:21]
	v_mul_f64 v[14:15], v[80:81], s[20:21]
	v_fma_f64 v[20:21], v[86:87], s[10:11], -v[20:21]
	v_add_f64 v[64:65], v[40:41], v[64:65]
	v_fma_f64 v[40:41], v[22:23], s[30:31], v[36:37]
	v_fma_f64 v[22:23], v[22:23], s[16:17], v[36:37]
	v_add_f64 v[52:53], v[16:17], v[30:31]
	v_fma_f64 v[30:31], v[56:57], s[20:21], v[18:19]
	v_add_f64 v[66:67], v[46:47], v[66:67]
	v_fma_f64 v[16:17], v[58:59], s[38:39], v[14:15]
	v_add_f64 v[46:47], v[20:21], v[28:29]
	v_mul_f64 v[20:21], v[80:81], s[0:1]
	v_fma_f64 v[14:15], v[58:59], s[24:25], v[14:15]
	v_add_f64 v[70:71], v[62:63], v[70:71]
	v_add_f64 v[62:63], v[44:45], v[90:91]
	;; [unrolled: 1-line block ×3, first 2 shown]
	v_mul_f64 v[22:23], v[12:13], s[4:5]
	v_fma_f64 v[18:19], v[56:57], s[20:21], -v[18:19]
	v_add_f64 v[50:51], v[30:31], v[82:83]
	v_mul_f64 v[82:83], v[12:13], s[30:31]
	v_add_f64 v[48:49], v[16:17], v[48:49]
	v_mul_f64 v[16:17], v[80:81], s[10:11]
	v_fma_f64 v[24:25], v[58:59], s[36:37], v[20:21]
	v_add_f64 v[36:37], v[14:15], v[26:27]
	v_fma_f64 v[14:15], v[58:59], s[4:5], v[20:21]
	v_add_f64 v[102:103], v[60:61], v[54:55]
	v_add_f64 v[54:55], v[38:39], v[42:43]
	;; [unrolled: 1-line block ×3, first 2 shown]
	v_fma_f64 v[28:29], v[56:57], s[0:1], v[22:23]
	v_add_f64 v[38:39], v[18:19], v[34:35]
	v_fma_f64 v[18:19], v[56:57], s[0:1], -v[22:23]
	v_fma_f64 v[22:23], v[56:57], s[10:11], v[82:83]
	v_mul_f64 v[84:85], v[12:13], s[34:35]
	v_fma_f64 v[20:21], v[58:59], s[16:17], v[16:17]
	v_add_f64 v[40:41], v[24:25], v[92:93]
	v_mul_f64 v[34:35], v[80:81], s[26:27]
	v_add_f64 v[24:25], v[14:15], v[32:33]
	v_fma_f64 v[14:15], v[58:59], s[30:31], v[16:17]
	v_fma_f64 v[16:17], v[56:57], s[10:11], -v[82:83]
	v_mul_f64 v[82:83], v[80:81], s[18:19]
	v_mul_f64 v[86:87], v[12:13], s[22:23]
	v_add_f64 v[30:31], v[22:23], v[100:101]
	v_fma_f64 v[22:23], v[56:57], s[26:27], v[84:85]
	v_add_f64 v[26:27], v[18:19], v[96:97]
	v_fma_f64 v[18:19], v[58:59], s[28:29], v[34:35]
	v_fma_f64 v[90:91], v[58:59], s[34:35], v[34:35]
	v_fma_f64 v[84:85], v[56:57], s[26:27], -v[84:85]
	v_add_f64 v[32:33], v[14:15], v[68:69]
	v_add_f64 v[34:35], v[16:17], v[88:89]
	v_fma_f64 v[14:15], v[58:59], s[42:43], v[82:83]
	v_fma_f64 v[88:89], v[56:57], s[18:19], v[86:87]
	v_add_f64 v[22:23], v[22:23], v[70:71]
	v_mul_f64 v[70:71], v[12:13], s[14:15]
	v_add_f64 v[42:43], v[28:29], v[94:95]
	v_add_f64 v[28:29], v[20:21], v[98:99]
	;; [unrolled: 1-line block ×4, first 2 shown]
	v_fma_f64 v[82:83], v[58:59], s[22:23], v[82:83]
	v_fma_f64 v[84:85], v[56:57], s[18:19], -v[86:87]
	v_mul_f64 v[68:69], v[80:81], s[6:7]
	v_add_f64 v[12:13], v[14:15], v[64:65]
	v_add_f64 v[14:15], v[88:89], v[66:67]
	v_add_f64 v[66:67], v[4:5], v[8:9]
	v_add_f64 v[64:65], v[4:5], -v[8:9]
	v_fma_f64 v[80:81], v[56:57], s[6:7], v[70:71]
	v_add_f64 v[8:9], v[82:83], v[52:53]
	v_add_f64 v[52:53], v[84:85], v[54:55]
	v_fma_f64 v[4:5], v[58:59], s[40:41], v[68:69]
	v_add_f64 v[54:55], v[6:7], v[10:11]
	v_add_f64 v[10:11], v[6:7], -v[10:11]
	v_mul_f64 v[6:7], v[66:67], s[26:27]
	v_mul_f64 v[82:83], v[64:65], s[28:29]
	v_fma_f64 v[68:69], v[58:59], s[14:15], v[68:69]
	v_fma_f64 v[70:71], v[56:57], s[6:7], -v[70:71]
	v_add_f64 v[58:59], v[80:81], v[62:63]
	v_mul_f64 v[80:81], v[64:65], s[22:23]
	v_add_f64 v[56:57], v[4:5], v[60:61]
	v_mul_f64 v[62:63], v[66:67], s[18:19]
	v_fma_f64 v[4:5], v[10:11], s[34:35], v[6:7]
	v_fma_f64 v[84:85], v[54:55], s[26:27], v[82:83]
	v_add_f64 v[60:61], v[68:69], v[44:45]
	v_add_f64 v[44:45], v[70:71], v[46:47]
	v_fma_f64 v[46:47], v[10:11], s[28:29], v[6:7]
	v_fma_f64 v[68:69], v[54:55], s[26:27], -v[82:83]
	v_fma_f64 v[82:83], v[54:55], s[18:19], v[80:81]
	v_fma_f64 v[70:71], v[10:11], s[42:43], v[62:63]
	v_add_f64 v[4:5], v[4:5], v[48:49]
	v_add_f64 v[6:7], v[84:85], v[50:51]
	v_mul_f64 v[48:49], v[66:67], s[20:21]
	v_mul_f64 v[50:51], v[64:65], s[24:25]
	v_add_f64 v[36:37], v[46:47], v[36:37]
	v_fma_f64 v[46:47], v[10:11], s[22:23], v[62:63]
	v_add_f64 v[42:43], v[82:83], v[42:43]
	v_fma_f64 v[62:63], v[54:55], s[18:19], -v[80:81]
	v_mul_f64 v[80:81], v[66:67], s[10:11]
	v_mul_f64 v[82:83], v[64:65], s[16:17]
	v_add_f64 v[38:39], v[68:69], v[38:39]
	v_add_f64 v[40:41], v[70:71], v[40:41]
	v_fma_f64 v[68:69], v[10:11], s[38:39], v[48:49]
	v_fma_f64 v[70:71], v[54:55], s[20:21], v[50:51]
	;; [unrolled: 1-line block ×3, first 2 shown]
	v_fma_f64 v[50:51], v[54:55], s[20:21], -v[50:51]
	v_add_f64 v[24:25], v[46:47], v[24:25]
	v_add_f64 v[26:27], v[62:63], v[26:27]
	v_fma_f64 v[46:47], v[10:11], s[30:31], v[80:81]
	v_fma_f64 v[62:63], v[54:55], s[10:11], v[82:83]
	v_add_f64 v[16:17], v[90:91], v[104:105]
	v_add_f64 v[28:29], v[68:69], v[28:29]
	;; [unrolled: 1-line block ×5, first 2 shown]
	v_fma_f64 v[48:49], v[10:11], s[16:17], v[80:81]
	v_fma_f64 v[50:51], v[54:55], s[10:11], -v[82:83]
	v_mul_f64 v[68:69], v[66:67], s[6:7]
	v_mul_f64 v[70:71], v[64:65], s[14:15]
	v_add_f64 v[20:21], v[46:47], v[20:21]
	v_add_f64 v[22:23], v[62:63], v[22:23]
	v_mul_f64 v[46:47], v[66:67], s[0:1]
	v_mul_f64 v[62:63], v[64:65], s[4:5]
	v_add_f64 v[16:17], v[48:49], v[16:17]
	v_add_f64 v[18:19], v[50:51], v[18:19]
	v_fma_f64 v[48:49], v[10:11], s[40:41], v[68:69]
	v_fma_f64 v[50:51], v[54:55], s[6:7], v[70:71]
	;; [unrolled: 1-line block ×3, first 2 shown]
	v_fma_f64 v[66:67], v[54:55], s[6:7], -v[70:71]
	v_fma_f64 v[68:69], v[10:11], s[36:37], v[46:47]
	v_fma_f64 v[70:71], v[54:55], s[0:1], v[62:63]
	;; [unrolled: 1-line block ×3, first 2 shown]
	v_fma_f64 v[62:63], v[54:55], s[0:1], -v[62:63]
	v_add_f64 v[10:11], v[48:49], v[12:13]
	v_add_f64 v[12:13], v[50:51], v[14:15]
	s_movk_i32 s33, 0xd0
	v_add_f64 v[48:49], v[66:67], v[52:53]
	v_add_f64 v[50:51], v[68:69], v[56:57]
	;; [unrolled: 1-line block ×5, first 2 shown]
	v_mad_u32_u24 v75, v76, s33, 0
	s_movk_i32 s33, 0x4f
	v_add_f64 v[46:47], v[64:65], v[8:9]
	ds_write_b128 v75, v[0:3]
	ds_write_b128 v75, v[4:7] offset:16
	ds_write_b128 v75, v[40:43] offset:32
	;; [unrolled: 1-line block ×12, first 2 shown]
	v_mul_lo_u16_sdwa v0, v76, s33 dst_sel:DWORD dst_unused:UNUSED_PAD src0_sel:BYTE_0 src1_sel:DWORD
	v_lshrrev_b16_e32 v45, 10, v0
	v_mul_lo_u16_e32 v0, 13, v45
	v_sub_u16_e32 v44, v76, v0
	v_mov_b32_e32 v0, 12
	v_mul_u32_u24_sdwa v0, v44, v0 dst_sel:DWORD dst_unused:UNUSED_PAD src0_sel:BYTE_0 src1_sel:DWORD
	v_lshlrev_b32_e32 v16, 4, v0
	s_waitcnt lgkmcnt(0)
	; wave barrier
	s_waitcnt lgkmcnt(0)
	global_load_dwordx4 v[0:3], v16, s[8:9]
	global_load_dwordx4 v[4:7], v16, s[8:9] offset:16
	global_load_dwordx4 v[8:11], v16, s[8:9] offset:32
	;; [unrolled: 1-line block ×10, first 2 shown]
	v_lshl_add_u32 v61, v79, 4, 0
	ds_read_b128 v[22:25], v61
	v_lshl_add_u32 v60, v74, 4, 0
	ds_read_b128 v[32:35], v60
	global_load_dwordx4 v[66:69], v16, s[8:9] offset:160
	s_movk_i32 s33, 0xff40
	v_mad_i32_i24 v81, v76, s33, v75
	v_lshl_add_u32 v80, v77, 4, 0
	ds_read_b128 v[86:89], v80
	ds_read_b128 v[90:93], v81 offset:4160
	ds_read_b128 v[82:85], v81 offset:9984
	s_waitcnt vmcnt(11) lgkmcnt(4)
	v_mul_f64 v[16:17], v[24:25], v[2:3]
	v_mul_f64 v[2:3], v[22:23], v[2:3]
	s_waitcnt vmcnt(10) lgkmcnt(3)
	v_mul_f64 v[26:27], v[34:35], v[6:7]
	v_mul_f64 v[6:7], v[32:33], v[6:7]
	v_fma_f64 v[58:59], v[22:23], v[0:1], -v[16:17]
	v_fma_f64 v[70:71], v[24:25], v[0:1], v[2:3]
	ds_read_b128 v[0:3], v81
	v_fma_f64 v[40:41], v[32:33], v[4:5], -v[26:27]
	v_fma_f64 v[42:43], v[34:35], v[4:5], v[6:7]
	s_waitcnt vmcnt(9) lgkmcnt(3)
	v_mul_f64 v[16:17], v[88:89], v[10:11]
	v_mul_f64 v[10:11], v[86:87], v[10:11]
	ds_read_b128 v[4:7], v81 offset:3328
	s_waitcnt lgkmcnt(1)
	v_add_f64 v[22:23], v[0:1], v[58:59]
	v_add_f64 v[24:25], v[2:3], v[70:71]
	s_waitcnt vmcnt(8) lgkmcnt(0)
	v_mul_f64 v[26:27], v[6:7], v[14:15]
	v_mul_f64 v[14:15], v[4:5], v[14:15]
	v_fma_f64 v[32:33], v[86:87], v[8:9], -v[16:17]
	v_fma_f64 v[34:35], v[88:89], v[8:9], v[10:11]
	v_add_f64 v[8:9], v[22:23], v[40:41]
	v_add_f64 v[10:11], v[24:25], v[42:43]
	s_waitcnt vmcnt(7)
	v_mul_f64 v[16:17], v[92:93], v[20:21]
	v_mul_f64 v[20:21], v[90:91], v[20:21]
	v_fma_f64 v[24:25], v[4:5], v[12:13], -v[26:27]
	v_fma_f64 v[26:27], v[6:7], v[12:13], v[14:15]
	ds_read_b128 v[4:7], v81 offset:4992
	ds_read_b128 v[12:15], v81 offset:5824
	v_add_f64 v[8:9], v[8:9], v[32:33]
	v_add_f64 v[10:11], v[10:11], v[34:35]
	v_fma_f64 v[16:17], v[90:91], v[18:19], -v[16:17]
	s_waitcnt vmcnt(6) lgkmcnt(1)
	v_mul_f64 v[22:23], v[6:7], v[30:31]
	v_mul_f64 v[30:31], v[4:5], v[30:31]
	v_fma_f64 v[18:19], v[92:93], v[18:19], v[20:21]
	v_add_f64 v[20:21], v[8:9], v[24:25]
	v_add_f64 v[86:87], v[10:11], v[26:27]
	v_fma_f64 v[8:9], v[4:5], v[28:29], -v[22:23]
	v_fma_f64 v[10:11], v[6:7], v[28:29], v[30:31]
	s_waitcnt vmcnt(5) lgkmcnt(0)
	v_mul_f64 v[22:23], v[14:15], v[38:39]
	v_mul_f64 v[38:39], v[12:13], v[38:39]
	ds_read_b128 v[4:7], v81 offset:6656
	ds_read_b128 v[28:31], v81 offset:7488
	v_add_f64 v[20:21], v[20:21], v[16:17]
	v_add_f64 v[86:87], v[86:87], v[18:19]
	s_waitcnt vmcnt(4) lgkmcnt(1)
	v_mul_f64 v[90:91], v[6:7], v[48:49]
	v_mul_f64 v[48:49], v[4:5], v[48:49]
	v_fma_f64 v[12:13], v[12:13], v[36:37], -v[22:23]
	v_fma_f64 v[14:15], v[14:15], v[36:37], v[38:39]
	v_add_f64 v[92:93], v[20:21], v[8:9]
	v_add_f64 v[94:95], v[86:87], v[10:11]
	ds_read_b128 v[36:39], v81 offset:8320
	ds_read_b128 v[86:89], v81 offset:9152
	v_fma_f64 v[20:21], v[4:5], v[46:47], -v[90:91]
	v_fma_f64 v[22:23], v[6:7], v[46:47], v[48:49]
	s_waitcnt vmcnt(3) lgkmcnt(2)
	v_mul_f64 v[4:5], v[30:31], v[52:53]
	v_mul_f64 v[6:7], v[28:29], v[52:53]
	s_waitcnt vmcnt(2) lgkmcnt(1)
	v_mul_f64 v[52:53], v[38:39], v[56:57]
	v_add_f64 v[46:47], v[92:93], v[12:13]
	v_add_f64 v[48:49], v[94:95], v[14:15]
	v_mul_f64 v[56:57], v[36:37], v[56:57]
	s_waitcnt vmcnt(1)
	v_mul_f64 v[90:91], v[82:83], v[64:65]
	v_mul_f64 v[64:65], v[84:85], v[64:65]
	v_fma_f64 v[28:29], v[28:29], v[50:51], -v[4:5]
	v_fma_f64 v[30:31], v[30:31], v[50:51], v[6:7]
	v_fma_f64 v[36:37], v[36:37], v[54:55], -v[52:53]
	v_add_f64 v[4:5], v[46:47], v[20:21]
	v_add_f64 v[6:7], v[48:49], v[22:23]
	v_fma_f64 v[38:39], v[38:39], v[54:55], v[56:57]
	s_waitcnt vmcnt(0) lgkmcnt(0)
	v_mul_f64 v[50:51], v[88:89], v[68:69]
	v_mul_f64 v[52:53], v[86:87], v[68:69]
	v_fma_f64 v[46:47], v[84:85], v[62:63], v[90:91]
	v_fma_f64 v[48:49], v[82:83], v[62:63], -v[64:65]
	v_add_f64 v[4:5], v[4:5], v[28:29]
	v_add_f64 v[6:7], v[6:7], v[30:31]
	; wave barrier
	v_fma_f64 v[50:51], v[86:87], v[66:67], -v[50:51]
	v_fma_f64 v[52:53], v[88:89], v[66:67], v[52:53]
	v_add_f64 v[54:55], v[70:71], -v[46:47]
	v_add_f64 v[56:57], v[58:59], -v[48:49]
	v_add_f64 v[58:59], v[58:59], v[48:49]
	v_add_f64 v[4:5], v[4:5], v[36:37]
	;; [unrolled: 1-line block ×4, first 2 shown]
	v_add_f64 v[112:113], v[40:41], -v[50:51]
	v_add_f64 v[110:111], v[42:43], -v[52:53]
	v_mul_f64 v[64:65], v[54:55], s[42:43]
	v_mul_f64 v[66:67], v[56:57], s[42:43]
	;; [unrolled: 1-line block ×3, first 2 shown]
	v_add_f64 v[4:5], v[4:5], v[50:51]
	v_add_f64 v[6:7], v[6:7], v[52:53]
	v_mul_f64 v[84:85], v[56:57], s[36:37]
	v_mul_f64 v[94:95], v[54:55], s[14:15]
	;; [unrolled: 1-line block ×5, first 2 shown]
	v_fma_f64 v[68:69], v[58:59], s[18:19], -v[64:65]
	v_add_f64 v[4:5], v[4:5], v[48:49]
	v_add_f64 v[6:7], v[6:7], v[46:47]
	v_mul_f64 v[46:47], v[54:55], s[30:31]
	v_mul_f64 v[48:49], v[56:57], s[30:31]
	;; [unrolled: 1-line block ×4, first 2 shown]
	v_fma_f64 v[70:71], v[62:63], s[18:19], v[66:67]
	v_fma_f64 v[64:65], v[58:59], s[18:19], v[64:65]
	v_fma_f64 v[66:67], v[62:63], s[18:19], -v[66:67]
	v_fma_f64 v[90:91], v[58:59], s[0:1], -v[82:83]
	;; [unrolled: 1-line block ×3, first 2 shown]
	v_fma_f64 v[88:89], v[62:63], s[10:11], v[48:49]
	v_fma_f64 v[46:47], v[58:59], s[10:11], v[46:47]
	v_fma_f64 v[48:49], v[62:63], s[10:11], -v[48:49]
	v_fma_f64 v[92:93], v[62:63], s[0:1], v[84:85]
	v_fma_f64 v[82:83], v[58:59], s[0:1], v[82:83]
	v_fma_f64 v[84:85], v[62:63], s[0:1], -v[84:85]
	v_fma_f64 v[102:103], v[58:59], s[6:7], -v[94:95]
	v_fma_f64 v[104:105], v[62:63], s[6:7], v[96:97]
	v_fma_f64 v[94:95], v[58:59], s[6:7], v[94:95]
	v_fma_f64 v[96:97], v[62:63], s[6:7], -v[96:97]
	v_fma_f64 v[106:107], v[58:59], s[20:21], -v[98:99]
	v_fma_f64 v[108:109], v[62:63], s[20:21], v[100:101]
	v_fma_f64 v[98:99], v[58:59], s[20:21], v[98:99]
	v_fma_f64 v[100:101], v[62:63], s[20:21], -v[100:101]
	v_add_f64 v[40:41], v[40:41], v[50:51]
	v_add_f64 v[42:43], v[42:43], v[52:53]
	v_mul_f64 v[50:51], v[110:111], s[30:31]
	v_mul_f64 v[52:53], v[112:113], s[30:31]
	v_fma_f64 v[114:115], v[58:59], s[26:27], -v[54:55]
	v_fma_f64 v[116:117], v[62:63], s[26:27], v[56:57]
	v_fma_f64 v[54:55], v[58:59], s[26:27], v[54:55]
	v_fma_f64 v[56:57], v[62:63], s[26:27], -v[56:57]
	v_add_f64 v[68:69], v[0:1], v[68:69]
	v_add_f64 v[70:71], v[2:3], v[70:71]
	;; [unrolled: 1-line block ×20, first 2 shown]
	v_fma_f64 v[98:99], v[40:41], s[10:11], -v[50:51]
	v_fma_f64 v[100:101], v[42:43], s[10:11], v[52:53]
	v_add_f64 v[114:115], v[0:1], v[114:115]
	v_add_f64 v[116:117], v[2:3], v[116:117]
	;; [unrolled: 1-line block ×4, first 2 shown]
	v_mul_f64 v[54:55], v[110:111], s[14:15]
	v_mul_f64 v[56:57], v[112:113], s[14:15]
	v_add_f64 v[68:69], v[98:99], v[68:69]
	v_add_f64 v[70:71], v[100:101], v[70:71]
	v_fma_f64 v[50:51], v[40:41], s[10:11], v[50:51]
	v_fma_f64 v[52:53], v[42:43], s[10:11], -v[52:53]
	v_mul_f64 v[98:99], v[110:111], s[28:29]
	v_mul_f64 v[100:101], v[112:113], s[28:29]
	v_fma_f64 v[118:119], v[40:41], s[6:7], -v[54:55]
	v_fma_f64 v[120:121], v[42:43], s[6:7], v[56:57]
	v_fma_f64 v[54:55], v[40:41], s[6:7], v[54:55]
	v_fma_f64 v[56:57], v[42:43], s[6:7], -v[56:57]
	v_add_f64 v[50:51], v[50:51], v[64:65]
	v_add_f64 v[52:53], v[52:53], v[66:67]
	v_fma_f64 v[64:65], v[40:41], s[26:27], -v[98:99]
	v_fma_f64 v[66:67], v[42:43], s[26:27], v[100:101]
	v_add_f64 v[86:87], v[118:119], v[86:87]
	v_add_f64 v[88:89], v[120:121], v[88:89]
	;; [unrolled: 1-line block ×4, first 2 shown]
	v_mul_f64 v[54:55], v[110:111], s[38:39]
	v_mul_f64 v[56:57], v[112:113], s[38:39]
	v_add_f64 v[64:65], v[64:65], v[90:91]
	v_add_f64 v[66:67], v[66:67], v[92:93]
	v_mul_f64 v[90:91], v[110:111], s[4:5]
	v_mul_f64 v[92:93], v[112:113], s[4:5]
	v_fma_f64 v[98:99], v[40:41], s[26:27], v[98:99]
	v_fma_f64 v[100:101], v[42:43], s[26:27], -v[100:101]
	v_fma_f64 v[118:119], v[40:41], s[20:21], -v[54:55]
	v_fma_f64 v[120:121], v[42:43], s[20:21], v[56:57]
	v_fma_f64 v[54:55], v[40:41], s[20:21], v[54:55]
	v_fma_f64 v[56:57], v[42:43], s[20:21], -v[56:57]
	v_fma_f64 v[122:123], v[40:41], s[0:1], -v[90:91]
	v_fma_f64 v[124:125], v[42:43], s[0:1], v[92:93]
	v_add_f64 v[82:83], v[98:99], v[82:83]
	v_add_f64 v[84:85], v[100:101], v[84:85]
	;; [unrolled: 1-line block ×4, first 2 shown]
	v_add_f64 v[102:103], v[34:35], -v[38:39]
	v_add_f64 v[104:105], v[32:33], -v[36:37]
	v_add_f64 v[54:55], v[54:55], v[94:95]
	v_add_f64 v[56:57], v[56:57], v[96:97]
	;; [unrolled: 1-line block ×4, first 2 shown]
	v_mul_f64 v[106:107], v[110:111], s[22:23]
	v_mul_f64 v[108:109], v[112:113], s[22:23]
	v_fma_f64 v[90:91], v[40:41], s[0:1], v[90:91]
	v_fma_f64 v[92:93], v[42:43], s[0:1], -v[92:93]
	v_add_f64 v[32:33], v[32:33], v[36:37]
	v_add_f64 v[34:35], v[34:35], v[38:39]
	v_mul_f64 v[36:37], v[102:103], s[36:37]
	v_mul_f64 v[38:39], v[104:105], s[36:37]
	v_fma_f64 v[110:111], v[40:41], s[18:19], -v[106:107]
	v_fma_f64 v[112:113], v[42:43], s[18:19], v[108:109]
	v_fma_f64 v[40:41], v[40:41], s[18:19], v[106:107]
	v_fma_f64 v[42:43], v[42:43], s[18:19], -v[108:109]
	v_add_f64 v[58:59], v[90:91], v[58:59]
	v_add_f64 v[62:63], v[92:93], v[62:63]
	v_fma_f64 v[90:91], v[32:33], s[0:1], -v[36:37]
	v_fma_f64 v[92:93], v[34:35], s[0:1], v[38:39]
	v_fma_f64 v[36:37], v[32:33], s[0:1], v[36:37]
	v_fma_f64 v[38:39], v[34:35], s[0:1], -v[38:39]
	v_add_f64 v[0:1], v[40:41], v[0:1]
	v_add_f64 v[2:3], v[42:43], v[2:3]
	v_mul_f64 v[40:41], v[102:103], s[28:29]
	v_mul_f64 v[42:43], v[104:105], s[28:29]
	v_add_f64 v[68:69], v[90:91], v[68:69]
	v_add_f64 v[70:71], v[92:93], v[70:71]
	v_mul_f64 v[90:91], v[102:103], s[40:41]
	v_mul_f64 v[92:93], v[104:105], s[40:41]
	v_add_f64 v[106:107], v[110:111], v[114:115]
	v_add_f64 v[108:109], v[112:113], v[116:117]
	v_fma_f64 v[110:111], v[32:33], s[26:27], -v[40:41]
	v_fma_f64 v[112:113], v[34:35], s[26:27], v[42:43]
	v_fma_f64 v[40:41], v[32:33], s[26:27], v[40:41]
	v_fma_f64 v[42:43], v[34:35], s[26:27], -v[42:43]
	v_add_f64 v[36:37], v[36:37], v[50:51]
	v_add_f64 v[38:39], v[38:39], v[52:53]
	v_fma_f64 v[50:51], v[32:33], s[6:7], -v[90:91]
	v_fma_f64 v[52:53], v[34:35], s[6:7], v[92:93]
	v_add_f64 v[86:87], v[110:111], v[86:87]
	v_add_f64 v[88:89], v[112:113], v[88:89]
	v_add_f64 v[40:41], v[40:41], v[46:47]
	v_add_f64 v[42:43], v[42:43], v[48:49]
	v_mul_f64 v[46:47], v[102:103], s[22:23]
	v_mul_f64 v[48:49], v[104:105], s[22:23]
	v_add_f64 v[50:51], v[50:51], v[64:65]
	v_add_f64 v[52:53], v[52:53], v[66:67]
	v_mul_f64 v[64:65], v[102:103], s[30:31]
	v_mul_f64 v[66:67], v[104:105], s[30:31]
	v_fma_f64 v[90:91], v[32:33], s[6:7], v[90:91]
	v_fma_f64 v[92:93], v[34:35], s[6:7], -v[92:93]
	v_fma_f64 v[110:111], v[32:33], s[18:19], -v[46:47]
	v_fma_f64 v[112:113], v[34:35], s[18:19], v[48:49]
	v_fma_f64 v[46:47], v[32:33], s[18:19], v[46:47]
	v_fma_f64 v[48:49], v[34:35], s[18:19], -v[48:49]
	v_fma_f64 v[114:115], v[32:33], s[10:11], -v[64:65]
	v_fma_f64 v[116:117], v[34:35], s[10:11], v[66:67]
	v_fma_f64 v[64:65], v[32:33], s[10:11], v[64:65]
	v_fma_f64 v[66:67], v[34:35], s[10:11], -v[66:67]
	v_add_f64 v[82:83], v[90:91], v[82:83]
	v_add_f64 v[84:85], v[92:93], v[84:85]
	;; [unrolled: 1-line block ×6, first 2 shown]
	v_add_f64 v[94:95], v[26:27], -v[30:31]
	v_add_f64 v[96:97], v[24:25], -v[28:29]
	v_add_f64 v[24:25], v[24:25], v[28:29]
	v_add_f64 v[26:27], v[26:27], v[30:31]
	;; [unrolled: 1-line block ×4, first 2 shown]
	v_mul_f64 v[98:99], v[102:103], s[24:25]
	v_mul_f64 v[100:101], v[104:105], s[24:25]
	;; [unrolled: 1-line block ×4, first 2 shown]
	v_add_f64 v[58:59], v[64:65], v[58:59]
	v_add_f64 v[62:63], v[66:67], v[62:63]
	v_fma_f64 v[102:103], v[32:33], s[20:21], -v[98:99]
	v_fma_f64 v[104:105], v[34:35], s[20:21], v[100:101]
	v_fma_f64 v[64:65], v[24:25], s[6:7], -v[28:29]
	v_fma_f64 v[66:67], v[26:27], s[6:7], v[30:31]
	v_fma_f64 v[32:33], v[32:33], s[20:21], v[98:99]
	v_fma_f64 v[34:35], v[34:35], s[20:21], -v[100:101]
	v_fma_f64 v[28:29], v[24:25], s[6:7], v[28:29]
	v_fma_f64 v[30:31], v[26:27], s[6:7], -v[30:31]
	v_add_f64 v[98:99], v[102:103], v[106:107]
	v_add_f64 v[100:101], v[104:105], v[108:109]
	;; [unrolled: 1-line block ×4, first 2 shown]
	v_mul_f64 v[68:69], v[94:95], s[22:23]
	v_mul_f64 v[70:71], v[96:97], s[22:23]
	v_add_f64 v[0:1], v[32:33], v[0:1]
	v_add_f64 v[2:3], v[34:35], v[2:3]
	v_mul_f64 v[32:33], v[94:95], s[38:39]
	v_mul_f64 v[34:35], v[96:97], s[38:39]
	v_add_f64 v[28:29], v[28:29], v[36:37]
	v_add_f64 v[30:31], v[30:31], v[38:39]
	v_fma_f64 v[36:37], v[24:25], s[18:19], -v[68:69]
	v_fma_f64 v[38:39], v[26:27], s[18:19], v[70:71]
	v_fma_f64 v[102:103], v[24:25], s[20:21], -v[32:33]
	v_fma_f64 v[104:105], v[26:27], s[20:21], v[34:35]
	v_fma_f64 v[32:33], v[24:25], s[20:21], v[32:33]
	v_fma_f64 v[34:35], v[26:27], s[20:21], -v[34:35]
	v_add_f64 v[36:37], v[36:37], v[50:51]
	v_add_f64 v[38:39], v[38:39], v[52:53]
	v_fma_f64 v[50:51], v[24:25], s[18:19], v[68:69]
	v_fma_f64 v[52:53], v[26:27], s[18:19], -v[70:71]
	v_mul_f64 v[68:69], v[94:95], s[34:35]
	v_mul_f64 v[70:71], v[96:97], s[34:35]
	v_add_f64 v[32:33], v[32:33], v[40:41]
	v_add_f64 v[34:35], v[34:35], v[42:43]
	v_mul_f64 v[40:41], v[94:95], s[36:37]
	v_mul_f64 v[42:43], v[96:97], s[36:37]
	v_add_f64 v[50:51], v[50:51], v[82:83]
	v_add_f64 v[52:53], v[52:53], v[84:85]
	v_fma_f64 v[82:83], v[24:25], s[26:27], -v[68:69]
	v_fma_f64 v[84:85], v[26:27], s[26:27], v[70:71]
	v_add_f64 v[86:87], v[102:103], v[86:87]
	v_add_f64 v[88:89], v[104:105], v[88:89]
	v_fma_f64 v[102:103], v[24:25], s[0:1], -v[40:41]
	v_fma_f64 v[104:105], v[26:27], s[0:1], v[42:43]
	v_fma_f64 v[40:41], v[24:25], s[0:1], v[40:41]
	v_fma_f64 v[42:43], v[26:27], s[0:1], -v[42:43]
	v_add_f64 v[54:55], v[82:83], v[54:55]
	v_add_f64 v[56:57], v[84:85], v[56:57]
	v_add_f64 v[82:83], v[18:19], -v[22:23]
	v_add_f64 v[84:85], v[16:17], -v[20:21]
	v_add_f64 v[90:91], v[102:103], v[90:91]
	v_add_f64 v[92:93], v[104:105], v[92:93]
	;; [unrolled: 1-line block ×4, first 2 shown]
	v_mul_f64 v[46:47], v[94:95], s[16:17]
	v_mul_f64 v[48:49], v[96:97], s[16:17]
	v_fma_f64 v[68:69], v[24:25], s[26:27], v[68:69]
	v_fma_f64 v[70:71], v[26:27], s[26:27], -v[70:71]
	v_add_f64 v[102:103], v[16:17], v[20:21]
	v_add_f64 v[104:105], v[18:19], v[22:23]
	v_mul_f64 v[16:17], v[82:83], s[24:25]
	v_mul_f64 v[18:19], v[84:85], s[24:25]
	v_fma_f64 v[94:95], v[24:25], s[10:11], -v[46:47]
	v_fma_f64 v[96:97], v[26:27], s[10:11], v[48:49]
	v_fma_f64 v[20:21], v[24:25], s[10:11], v[46:47]
	v_fma_f64 v[22:23], v[26:27], s[10:11], -v[48:49]
	v_add_f64 v[24:25], v[68:69], v[58:59]
	v_add_f64 v[26:27], v[70:71], v[62:63]
	v_fma_f64 v[58:59], v[102:103], s[20:21], -v[16:17]
	v_fma_f64 v[62:63], v[104:105], s[20:21], v[18:19]
	v_fma_f64 v[16:17], v[102:103], s[20:21], v[16:17]
	v_fma_f64 v[18:19], v[104:105], s[20:21], -v[18:19]
	v_add_f64 v[0:1], v[20:21], v[0:1]
	v_add_f64 v[2:3], v[22:23], v[2:3]
	v_mul_f64 v[20:21], v[82:83], s[4:5]
	v_mul_f64 v[22:23], v[84:85], s[4:5]
	v_add_f64 v[58:59], v[58:59], v[64:65]
	v_add_f64 v[62:63], v[62:63], v[66:67]
	v_mul_f64 v[64:65], v[82:83], s[30:31]
	v_mul_f64 v[66:67], v[84:85], s[30:31]
	v_add_f64 v[46:47], v[94:95], v[98:99]
	v_add_f64 v[48:49], v[96:97], v[100:101]
	v_fma_f64 v[68:69], v[102:103], s[0:1], -v[20:21]
	v_fma_f64 v[70:71], v[104:105], s[0:1], v[22:23]
	v_add_f64 v[94:95], v[16:17], v[28:29]
	v_add_f64 v[96:97], v[18:19], v[30:31]
	v_fma_f64 v[16:17], v[102:103], s[0:1], v[20:21]
	v_fma_f64 v[18:19], v[104:105], s[0:1], -v[22:23]
	v_fma_f64 v[20:21], v[102:103], s[10:11], -v[64:65]
	v_fma_f64 v[22:23], v[104:105], s[10:11], v[66:67]
	v_mul_f64 v[28:29], v[82:83], s[34:35]
	v_mul_f64 v[30:31], v[84:85], s[34:35]
	v_add_f64 v[68:69], v[68:69], v[86:87]
	v_add_f64 v[70:71], v[70:71], v[88:89]
	;; [unrolled: 1-line block ×6, first 2 shown]
	v_fma_f64 v[16:17], v[102:103], s[10:11], v[64:65]
	v_fma_f64 v[18:19], v[104:105], s[10:11], -v[66:67]
	v_fma_f64 v[20:21], v[102:103], s[26:27], -v[28:29]
	v_fma_f64 v[22:23], v[104:105], s[26:27], v[30:31]
	v_mul_f64 v[36:37], v[82:83], s[22:23]
	v_mul_f64 v[38:39], v[84:85], s[22:23]
	v_fma_f64 v[28:29], v[102:103], s[26:27], v[28:29]
	v_fma_f64 v[30:31], v[104:105], s[26:27], -v[30:31]
	v_add_f64 v[64:65], v[16:17], v[50:51]
	v_add_f64 v[66:67], v[18:19], v[52:53]
	v_add_f64 v[32:33], v[20:21], v[90:91]
	v_add_f64 v[34:35], v[22:23], v[92:93]
	v_fma_f64 v[16:17], v[102:103], s[18:19], -v[36:37]
	v_fma_f64 v[18:19], v[104:105], s[18:19], v[38:39]
	v_add_f64 v[20:21], v[28:29], v[40:41]
	v_add_f64 v[22:23], v[30:31], v[42:43]
	v_fma_f64 v[28:29], v[102:103], s[18:19], v[36:37]
	v_fma_f64 v[30:31], v[104:105], s[18:19], -v[38:39]
	v_mul_f64 v[40:41], v[82:83], s[14:15]
	v_mul_f64 v[42:43], v[84:85], s[14:15]
	v_add_f64 v[38:39], v[10:11], -v[14:15]
	v_add_f64 v[36:37], v[8:9], -v[12:13]
	v_add_f64 v[16:17], v[16:17], v[54:55]
	v_add_f64 v[18:19], v[18:19], v[56:57]
	;; [unrolled: 1-line block ×4, first 2 shown]
	v_fma_f64 v[30:31], v[102:103], s[6:7], -v[40:41]
	v_fma_f64 v[50:51], v[104:105], s[6:7], v[42:43]
	v_add_f64 v[28:29], v[8:9], v[12:13]
	v_add_f64 v[12:13], v[10:11], v[14:15]
	v_mul_f64 v[8:9], v[38:39], s[28:29]
	v_mul_f64 v[10:11], v[36:37], s[28:29]
	v_fma_f64 v[40:41], v[102:103], s[6:7], v[40:41]
	v_fma_f64 v[42:43], v[104:105], s[6:7], -v[42:43]
	v_add_f64 v[14:15], v[30:31], v[46:47]
	v_add_f64 v[30:31], v[50:51], v[48:49]
	v_mul_f64 v[46:47], v[38:39], s[22:23]
	v_mul_f64 v[48:49], v[36:37], s[22:23]
	v_fma_f64 v[50:51], v[28:29], s[26:27], -v[8:9]
	v_fma_f64 v[52:53], v[12:13], s[26:27], v[10:11]
	v_add_f64 v[82:83], v[40:41], v[0:1]
	v_add_f64 v[84:85], v[42:43], v[2:3]
	v_fma_f64 v[0:1], v[28:29], s[26:27], v[8:9]
	v_fma_f64 v[2:3], v[12:13], s[26:27], -v[10:11]
	v_fma_f64 v[40:41], v[28:29], s[18:19], -v[46:47]
	v_fma_f64 v[42:43], v[12:13], s[18:19], v[48:49]
	v_add_f64 v[8:9], v[50:51], v[58:59]
	v_add_f64 v[10:11], v[52:53], v[62:63]
	v_mul_f64 v[50:51], v[38:39], s[24:25]
	v_mul_f64 v[52:53], v[36:37], s[24:25]
	v_fma_f64 v[46:47], v[28:29], s[18:19], v[46:47]
	v_fma_f64 v[48:49], v[12:13], s[18:19], -v[48:49]
	v_add_f64 v[40:41], v[40:41], v[68:69]
	v_add_f64 v[42:43], v[42:43], v[70:71]
	v_mul_f64 v[58:59], v[38:39], s[16:17]
	v_mul_f64 v[62:63], v[36:37], s[16:17]
	v_fma_f64 v[54:55], v[28:29], s[20:21], -v[50:51]
	v_fma_f64 v[56:57], v[12:13], s[20:21], v[52:53]
	v_fma_f64 v[68:69], v[28:29], s[20:21], v[50:51]
	v_fma_f64 v[70:71], v[12:13], s[20:21], -v[52:53]
	v_add_f64 v[46:47], v[46:47], v[86:87]
	v_add_f64 v[48:49], v[48:49], v[88:89]
	v_fma_f64 v[86:87], v[28:29], s[10:11], -v[58:59]
	v_fma_f64 v[88:89], v[12:13], s[10:11], v[62:63]
	v_add_f64 v[50:51], v[54:55], v[98:99]
	v_add_f64 v[52:53], v[56:57], v[100:101]
	;; [unrolled: 1-line block ×4, first 2 shown]
	v_fma_f64 v[58:59], v[28:29], s[10:11], v[58:59]
	v_fma_f64 v[62:63], v[12:13], s[10:11], -v[62:63]
	v_mul_f64 v[64:65], v[38:39], s[14:15]
	v_mul_f64 v[66:67], v[36:37], s[14:15]
	;; [unrolled: 1-line block ×4, first 2 shown]
	v_add_f64 v[32:33], v[86:87], v[32:33]
	v_add_f64 v[34:35], v[88:89], v[34:35]
	;; [unrolled: 1-line block ×4, first 2 shown]
	v_fma_f64 v[58:59], v[28:29], s[6:7], -v[64:65]
	v_fma_f64 v[62:63], v[12:13], s[6:7], v[66:67]
	v_fma_f64 v[68:69], v[28:29], s[0:1], -v[38:39]
	v_fma_f64 v[70:71], v[12:13], s[0:1], v[36:37]
	;; [unrolled: 2-line block ×3, first 2 shown]
	v_fma_f64 v[28:29], v[28:29], s[0:1], v[38:39]
	v_fma_f64 v[66:67], v[12:13], s[6:7], -v[66:67]
	v_add_f64 v[16:17], v[58:59], v[16:17]
	v_add_f64 v[18:19], v[62:63], v[18:19]
	;; [unrolled: 1-line block ×5, first 2 shown]
	v_mov_b32_e32 v37, 4
	v_mul_u32_u24_e32 v36, 0xa90, v45
	v_lshlrev_b32_sdwa v37, v37, v44 dst_sel:DWORD dst_unused:UNUSED_PAD src0_sel:DWORD src1_sel:BYTE_0
	v_add_f64 v[28:29], v[28:29], v[82:83]
	v_add3_u32 v36, 0, v36, v37
	v_add_f64 v[0:1], v[0:1], v[94:95]
	v_add_f64 v[2:3], v[2:3], v[96:97]
	;; [unrolled: 1-line block ×4, first 2 shown]
	ds_write_b128 v36, v[4:7]
	ds_write_b128 v36, v[8:11] offset:208
	ds_write_b128 v36, v[40:43] offset:416
	;; [unrolled: 1-line block ×12, first 2 shown]
	s_waitcnt lgkmcnt(0)
	; wave barrier
	s_waitcnt lgkmcnt(0)
	ds_read_b128 v[48:51], v81
	ds_read_b128 v[52:55], v81 offset:2704
	ds_read_b128 v[56:59], v81 offset:5408
	;; [unrolled: 1-line block ×3, first 2 shown]
	ds_read_b128 v[36:39], v61
	ds_read_b128 v[20:23], v60
	ds_read_b128 v[64:67], v81 offset:3536
	ds_read_b128 v[28:31], v81 offset:4368
	;; [unrolled: 1-line block ×6, first 2 shown]
	v_cmp_gt_u32_e64 s[0:1], 13, v76
                                        ; implicit-def: $vgpr6_vgpr7
                                        ; implicit-def: $vgpr10_vgpr11
                                        ; implicit-def: $vgpr14_vgpr15
	s_and_saveexec_b64 s[4:5], s[0:1]
	s_cbranch_execz .LBB0_15
; %bb.14:
	v_mul_i32_i24_e32 v0, 0xffffff40, v76
	v_add_u32_e32 v12, v75, v0
	ds_read_b128 v[0:3], v80
	ds_read_b128 v[4:7], v12 offset:5200
	ds_read_b128 v[8:11], v12 offset:7904
	;; [unrolled: 1-line block ×3, first 2 shown]
.LBB0_15:
	s_or_b64 exec, exec, s[4:5]
	s_and_saveexec_b64 s[4:5], vcc
	s_cbranch_execz .LBB0_18
; %bb.16:
	v_mul_i32_i24_e32 v74, 3, v74
	v_mov_b32_e32 v75, 0
	v_lshlrev_b64 v[16:17], 4, v[74:75]
	v_mov_b32_e32 v98, s9
	v_add_co_u32_e32 v16, vcc, s8, v16
	v_addc_co_u32_e32 v17, vcc, v98, v17, vcc
	global_load_dwordx4 v[80:83], v[16:17], off offset:2528
	global_load_dwordx4 v[84:87], v[16:17], off offset:2512
	;; [unrolled: 1-line block ×3, first 2 shown]
	v_mul_i32_i24_e32 v74, 3, v79
	s_movk_i32 s6, 0x1fb
	s_waitcnt vmcnt(1) lgkmcnt(2)
	v_mul_f64 v[16:17], v[42:43], v[84:85]
	v_fma_f64 v[16:17], v[40:41], v[86:87], v[16:17]
	v_add_f64 v[92:93], v[22:23], -v[16:17]
	s_waitcnt vmcnt(0)
	v_mul_f64 v[16:17], v[30:31], v[90:91]
	v_fma_f64 v[94:95], v[28:29], v[88:89], -v[16:17]
	s_waitcnt lgkmcnt(0)
	v_mul_f64 v[16:17], v[34:35], v[82:83]
	v_fma_f64 v[16:17], v[32:33], v[80:81], -v[16:17]
	v_add_f64 v[96:97], v[94:95], -v[16:17]
	v_mul_f64 v[16:17], v[42:43], v[86:87]
	v_add_f64 v[18:19], v[92:93], v[96:97]
	v_fma_f64 v[16:17], v[40:41], v[84:85], -v[16:17]
	v_fma_f64 v[26:27], v[92:93], 2.0, -v[18:19]
	v_add_f64 v[40:41], v[20:21], -v[16:17]
	v_mul_f64 v[16:17], v[28:29], v[90:91]
	v_fma_f64 v[28:29], v[30:31], v[88:89], v[16:17]
	v_mul_f64 v[16:17], v[32:33], v[82:83]
	v_fma_f64 v[32:33], v[22:23], 2.0, -v[92:93]
	v_fma_f64 v[16:17], v[34:35], v[80:81], v[16:17]
	v_add_f64 v[30:31], v[28:29], -v[16:17]
	v_fma_f64 v[22:23], v[28:29], 2.0, -v[30:31]
	v_add_f64 v[16:17], v[40:41], -v[30:31]
	v_fma_f64 v[28:29], v[20:21], 2.0, -v[40:41]
	v_fma_f64 v[20:21], v[94:95], 2.0, -v[96:97]
	v_add_f64 v[22:23], v[32:33], -v[22:23]
	v_fma_f64 v[24:25], v[40:41], 2.0, -v[16:17]
	v_add_f64 v[20:21], v[28:29], -v[20:21]
	v_fma_f64 v[30:31], v[32:33], 2.0, -v[22:23]
	v_lshlrev_b64 v[32:33], 4, v[74:75]
	v_add_co_u32_e32 v32, vcc, s8, v32
	v_addc_co_u32_e32 v33, vcc, v98, v33, vcc
	global_load_dwordx4 v[79:82], v[32:33], off offset:2528
	global_load_dwordx4 v[83:86], v[32:33], off offset:2512
	;; [unrolled: 1-line block ×3, first 2 shown]
	v_fma_f64 v[28:29], v[28:29], 2.0, -v[20:21]
	s_waitcnt vmcnt(1)
	v_mul_f64 v[32:33], v[46:47], v[83:84]
	v_fma_f64 v[32:33], v[44:45], v[85:86], v[32:33]
	v_add_f64 v[91:92], v[38:39], -v[32:33]
	s_waitcnt vmcnt(0)
	v_mul_f64 v[32:33], v[66:67], v[89:90]
	v_fma_f64 v[93:94], v[64:65], v[87:88], -v[32:33]
	v_mul_f64 v[32:33], v[70:71], v[81:82]
	v_fma_f64 v[32:33], v[68:69], v[79:80], -v[32:33]
	v_add_f64 v[95:96], v[93:94], -v[32:33]
	v_mul_f64 v[32:33], v[46:47], v[85:86]
	v_add_f64 v[34:35], v[91:92], v[95:96]
	v_fma_f64 v[32:33], v[44:45], v[83:84], -v[32:33]
	v_fma_f64 v[42:43], v[91:92], 2.0, -v[34:35]
	v_add_f64 v[44:45], v[36:37], -v[32:33]
	v_mul_f64 v[32:33], v[64:65], v[89:90]
	v_fma_f64 v[46:47], v[66:67], v[87:88], v[32:33]
	v_mul_f64 v[32:33], v[68:69], v[81:82]
	v_fma_f64 v[66:67], v[38:39], 2.0, -v[91:92]
	v_fma_f64 v[32:33], v[70:71], v[79:80], v[32:33]
	v_add_f64 v[64:65], v[46:47], -v[32:33]
	v_fma_f64 v[38:39], v[46:47], 2.0, -v[64:65]
	v_add_f64 v[32:33], v[44:45], -v[64:65]
	v_mul_u32_u24_e32 v64, 3, v76
	v_lshlrev_b32_e32 v74, 4, v64
	v_add_f64 v[38:39], v[66:67], -v[38:39]
	v_fma_f64 v[40:41], v[44:45], 2.0, -v[32:33]
	v_fma_f64 v[44:45], v[36:37], 2.0, -v[44:45]
	;; [unrolled: 1-line block ×4, first 2 shown]
	global_load_dwordx4 v[64:67], v74, s[8:9] offset:2528
	global_load_dwordx4 v[68:71], v74, s[8:9] offset:2512
	global_load_dwordx4 v[79:82], v74, s[8:9] offset:2496
	v_add_f64 v[36:37], v[44:45], -v[36:37]
	v_fma_f64 v[44:45], v[44:45], 2.0, -v[36:37]
	s_waitcnt vmcnt(1)
	v_mul_f64 v[83:84], v[58:59], v[68:69]
	v_mul_f64 v[58:59], v[58:59], v[70:71]
	v_fma_f64 v[83:84], v[56:57], v[70:71], v[83:84]
	v_fma_f64 v[56:57], v[56:57], v[68:69], -v[58:59]
	v_add_f64 v[89:90], v[50:51], -v[83:84]
	s_waitcnt vmcnt(0)
	v_mul_f64 v[83:84], v[54:55], v[81:82]
	v_add_f64 v[58:59], v[48:49], -v[56:57]
	v_fma_f64 v[50:51], v[50:51], 2.0, -v[89:90]
	v_fma_f64 v[91:92], v[52:53], v[79:80], -v[83:84]
	v_mul_f64 v[52:53], v[52:53], v[81:82]
	v_mul_f64 v[83:84], v[62:63], v[66:67]
	v_fma_f64 v[48:49], v[48:49], 2.0, -v[58:59]
	v_fma_f64 v[52:53], v[54:55], v[79:80], v[52:53]
	v_mul_f64 v[54:55], v[60:61], v[66:67]
	v_fma_f64 v[83:84], v[60:61], v[64:65], -v[83:84]
	v_fma_f64 v[54:55], v[62:63], v[64:65], v[54:55]
	v_add_f64 v[93:94], v[91:92], -v[83:84]
	v_add_f64 v[54:55], v[52:53], -v[54:55]
	v_add_f64 v[83:84], v[89:90], v[93:94]
	v_fma_f64 v[52:53], v[52:53], 2.0, -v[54:55]
	v_add_f64 v[81:82], v[58:59], -v[54:55]
	v_fma_f64 v[87:88], v[89:90], 2.0, -v[83:84]
	v_add_f64 v[52:53], v[50:51], -v[52:53]
	v_fma_f64 v[85:86], v[58:59], 2.0, -v[81:82]
	v_mad_u64_u32 v[58:59], s[4:5], s2, v76, 0
	v_fma_f64 v[56:57], v[50:51], 2.0, -v[52:53]
	v_fma_f64 v[50:51], v[91:92], 2.0, -v[93:94]
	v_add_f64 v[50:51], v[48:49], -v[50:51]
	v_fma_f64 v[54:55], v[48:49], 2.0, -v[50:51]
	v_mov_b32_e32 v48, v59
	v_mad_u64_u32 v[48:49], s[4:5], s3, v76, v[48:49]
	v_mov_b32_e32 v49, s13
	v_mov_b32_e32 v59, v48
	v_add_co_u32_e32 v48, vcc, s12, v72
	v_lshlrev_b64 v[58:59], 4, v[58:59]
	v_addc_co_u32_e32 v49, vcc, v49, v73, vcc
	v_add_co_u32_e32 v58, vcc, v48, v58
	v_addc_co_u32_e32 v59, vcc, v49, v59, vcc
	global_store_dwordx4 v[58:59], v[54:57], off
	s_nop 0
	v_add_u32_e32 v56, 0xa9, v76
	v_mad_u64_u32 v[54:55], s[4:5], s2, v56, 0
	v_mad_u64_u32 v[55:56], s[4:5], s3, v56, v[55:56]
	v_add_u32_e32 v56, 0x152, v76
	v_lshlrev_b64 v[54:55], 4, v[54:55]
	v_add_co_u32_e32 v54, vcc, v48, v54
	v_addc_co_u32_e32 v55, vcc, v49, v55, vcc
	global_store_dwordx4 v[54:55], v[85:88], off
	v_mad_u64_u32 v[54:55], s[4:5], s2, v56, 0
	v_mad_u64_u32 v[55:56], s[4:5], s3, v56, v[55:56]
	v_lshlrev_b64 v[54:55], 4, v[54:55]
	v_add_co_u32_e32 v54, vcc, v48, v54
	v_addc_co_u32_e32 v55, vcc, v49, v55, vcc
	global_store_dwordx4 v[54:55], v[50:53], off
	s_nop 0
	v_add_u32_e32 v52, 0x1fb, v76
	v_mad_u64_u32 v[50:51], s[4:5], s2, v52, 0
	v_mad_u64_u32 v[51:52], s[4:5], s3, v52, v[51:52]
	v_lshlrev_b64 v[50:51], 4, v[50:51]
	v_add_co_u32_e32 v50, vcc, v48, v50
	v_addc_co_u32_e32 v51, vcc, v49, v51, vcc
	global_store_dwordx4 v[50:51], v[81:84], off
	v_mad_u64_u32 v[50:51], s[4:5], s2, v78, 0
	v_mad_u64_u32 v[51:52], s[4:5], s3, v78, v[51:52]
	v_lshlrev_b64 v[50:51], 4, v[50:51]
	v_add_co_u32_e32 v50, vcc, v48, v50
	v_addc_co_u32_e32 v51, vcc, v49, v51, vcc
	global_store_dwordx4 v[50:51], v[44:47], off
	s_nop 0
	v_add_u32_e32 v46, 0xdd, v76
	v_mad_u64_u32 v[44:45], s[4:5], s2, v46, 0
	v_mad_u64_u32 v[45:46], s[4:5], s3, v46, v[45:46]
	v_lshlrev_b64 v[44:45], 4, v[44:45]
	v_add_co_u32_e32 v44, vcc, v48, v44
	v_addc_co_u32_e32 v45, vcc, v49, v45, vcc
	global_store_dwordx4 v[44:45], v[40:43], off
	s_nop 0
	v_add_u32_e32 v42, 0x186, v76
	;; [unrolled: 8-line block ×3, first 2 shown]
	v_mad_u64_u32 v[36:37], s[4:5], s2, v38, 0
	v_mad_u64_u32 v[37:38], s[4:5], s3, v38, v[37:38]
	s_mov_b32 s4, 0x60f25deb
	v_lshlrev_b64 v[36:37], 4, v[36:37]
	v_add_co_u32_e32 v36, vcc, v48, v36
	v_addc_co_u32_e32 v37, vcc, v49, v37, vcc
	global_store_dwordx4 v[36:37], v[32:35], off
	s_nop 0
	v_add_u32_e32 v32, 0x68, v76
	v_mul_hi_u32 v33, v32, s4
	v_lshrrev_b32_e32 v33, 6, v33
	v_mad_u32_u24 v35, v33, s6, v32
	v_mad_u64_u32 v[32:33], s[4:5], s2, v35, 0
	v_mad_u64_u32 v[33:34], s[4:5], s3, v35, v[33:34]
	v_lshlrev_b64 v[32:33], 4, v[32:33]
	v_add_co_u32_e32 v32, vcc, v48, v32
	v_addc_co_u32_e32 v33, vcc, v49, v33, vcc
	global_store_dwordx4 v[32:33], v[28:31], off
	s_nop 0
	v_add_u32_e32 v30, 0xa9, v35
	v_mad_u64_u32 v[28:29], s[4:5], s2, v30, 0
	v_mad_u64_u32 v[29:30], s[4:5], s3, v30, v[29:30]
	v_lshlrev_b64 v[28:29], 4, v[28:29]
	v_add_co_u32_e32 v28, vcc, v48, v28
	v_addc_co_u32_e32 v29, vcc, v49, v29, vcc
	global_store_dwordx4 v[28:29], v[24:27], off
	s_nop 0
	v_add_u32_e32 v26, 0x152, v35
	;; [unrolled: 8-line block ×3, first 2 shown]
	v_mad_u64_u32 v[20:21], s[4:5], s2, v22, 0
	v_mad_u64_u32 v[21:22], s[4:5], s3, v22, v[21:22]
	v_lshlrev_b64 v[20:21], 4, v[20:21]
	v_add_co_u32_e32 v20, vcc, v48, v20
	v_addc_co_u32_e32 v21, vcc, v49, v21, vcc
	global_store_dwordx4 v[20:21], v[16:19], off
	s_and_b64 exec, exec, s[0:1]
	s_cbranch_execz .LBB0_18
; %bb.17:
	v_add_u32_e32 v16, -13, v76
	v_cndmask_b32_e64 v16, v16, v77, s[0:1]
	v_mul_i32_i24_e32 v74, 3, v16
	v_lshlrev_b64 v[16:17], 4, v[74:75]
	v_mov_b32_e32 v18, s9
	v_add_co_u32_e32 v28, vcc, s8, v16
	v_addc_co_u32_e32 v29, vcc, v18, v17, vcc
	global_load_dwordx4 v[16:19], v[28:29], off offset:2496
	global_load_dwordx4 v[20:23], v[28:29], off offset:2512
	;; [unrolled: 1-line block ×3, first 2 shown]
	v_add_u32_e32 v36, 0x9c, v76
	v_add_u32_e32 v38, 0x145, v76
	;; [unrolled: 1-line block ×3, first 2 shown]
	v_mad_u64_u32 v[28:29], s[0:1], s2, v36, 0
	v_mad_u64_u32 v[30:31], s[0:1], s2, v38, 0
	v_add_u32_e32 v45, 0x297, v76
	v_mad_u64_u32 v[32:33], s[0:1], s2, v39, 0
	v_mad_u64_u32 v[34:35], s[0:1], s2, v45, 0
	;; [unrolled: 1-line block ×5, first 2 shown]
	v_mov_b32_e32 v29, v36
	v_mad_u64_u32 v[45:46], s[0:1], s3, v45, v[35:36]
	v_mov_b32_e32 v31, v37
	v_mov_b32_e32 v33, v38
	;; [unrolled: 1-line block ×3, first 2 shown]
	s_waitcnt vmcnt(2)
	v_mul_f64 v[39:40], v[6:7], v[18:19]
	v_mul_f64 v[18:19], v[4:5], v[18:19]
	s_waitcnt vmcnt(1)
	v_mul_f64 v[41:42], v[10:11], v[22:23]
	v_mul_f64 v[22:23], v[8:9], v[22:23]
	;; [unrolled: 3-line block ×3, first 2 shown]
	v_fma_f64 v[4:5], v[4:5], v[16:17], -v[39:40]
	v_fma_f64 v[6:7], v[6:7], v[16:17], v[18:19]
	v_fma_f64 v[8:9], v[8:9], v[20:21], -v[41:42]
	v_fma_f64 v[10:11], v[10:11], v[20:21], v[22:23]
	;; [unrolled: 2-line block ×3, first 2 shown]
	v_lshlrev_b64 v[16:17], 4, v[28:29]
	v_lshlrev_b64 v[18:19], 4, v[30:31]
	v_add_co_u32_e32 v16, vcc, v48, v16
	v_add_f64 v[8:9], v[0:1], -v[8:9]
	v_add_f64 v[10:11], v[2:3], -v[10:11]
	;; [unrolled: 1-line block ×4, first 2 shown]
	v_addc_co_u32_e32 v17, vcc, v49, v17, vcc
	v_lshlrev_b64 v[20:21], 4, v[32:33]
	v_add_co_u32_e32 v18, vcc, v48, v18
	v_fma_f64 v[24:25], v[0:1], 2.0, -v[8:9]
	v_fma_f64 v[26:27], v[2:3], 2.0, -v[10:11]
	;; [unrolled: 1-line block ×4, first 2 shown]
	v_add_f64 v[0:1], v[8:9], -v[14:15]
	v_add_f64 v[2:3], v[10:11], v[12:13]
	v_addc_co_u32_e32 v19, vcc, v49, v19, vcc
	v_lshlrev_b64 v[22:23], 4, v[34:35]
	v_add_co_u32_e32 v20, vcc, v48, v20
	v_add_f64 v[4:5], v[24:25], -v[4:5]
	v_add_f64 v[6:7], v[26:27], -v[6:7]
	v_fma_f64 v[8:9], v[8:9], 2.0, -v[0:1]
	v_fma_f64 v[10:11], v[10:11], 2.0, -v[2:3]
	v_addc_co_u32_e32 v21, vcc, v49, v21, vcc
	v_add_co_u32_e32 v22, vcc, v48, v22
	v_fma_f64 v[12:13], v[24:25], 2.0, -v[4:5]
	v_fma_f64 v[14:15], v[26:27], 2.0, -v[6:7]
	v_addc_co_u32_e32 v23, vcc, v49, v23, vcc
	global_store_dwordx4 v[16:17], v[12:15], off
	global_store_dwordx4 v[18:19], v[8:11], off
	;; [unrolled: 1-line block ×4, first 2 shown]
.LBB0_18:
	s_endpgm
	.section	.rodata,"a",@progbits
	.p2align	6, 0x0
	.amdhsa_kernel fft_rtc_fwd_len676_factors_13_13_4_wgs_52_tpt_52_dp_ip_CI_sbrr_dirReg
		.amdhsa_group_segment_fixed_size 0
		.amdhsa_private_segment_fixed_size 0
		.amdhsa_kernarg_size 88
		.amdhsa_user_sgpr_count 6
		.amdhsa_user_sgpr_private_segment_buffer 1
		.amdhsa_user_sgpr_dispatch_ptr 0
		.amdhsa_user_sgpr_queue_ptr 0
		.amdhsa_user_sgpr_kernarg_segment_ptr 1
		.amdhsa_user_sgpr_dispatch_id 0
		.amdhsa_user_sgpr_flat_scratch_init 0
		.amdhsa_user_sgpr_private_segment_size 0
		.amdhsa_uses_dynamic_stack 0
		.amdhsa_system_sgpr_private_segment_wavefront_offset 0
		.amdhsa_system_sgpr_workgroup_id_x 1
		.amdhsa_system_sgpr_workgroup_id_y 0
		.amdhsa_system_sgpr_workgroup_id_z 0
		.amdhsa_system_sgpr_workgroup_info 0
		.amdhsa_system_vgpr_workitem_id 0
		.amdhsa_next_free_vgpr 126
		.amdhsa_next_free_sgpr 44
		.amdhsa_reserve_vcc 1
		.amdhsa_reserve_flat_scratch 0
		.amdhsa_float_round_mode_32 0
		.amdhsa_float_round_mode_16_64 0
		.amdhsa_float_denorm_mode_32 3
		.amdhsa_float_denorm_mode_16_64 3
		.amdhsa_dx10_clamp 1
		.amdhsa_ieee_mode 1
		.amdhsa_fp16_overflow 0
		.amdhsa_exception_fp_ieee_invalid_op 0
		.amdhsa_exception_fp_denorm_src 0
		.amdhsa_exception_fp_ieee_div_zero 0
		.amdhsa_exception_fp_ieee_overflow 0
		.amdhsa_exception_fp_ieee_underflow 0
		.amdhsa_exception_fp_ieee_inexact 0
		.amdhsa_exception_int_div_zero 0
	.end_amdhsa_kernel
	.text
.Lfunc_end0:
	.size	fft_rtc_fwd_len676_factors_13_13_4_wgs_52_tpt_52_dp_ip_CI_sbrr_dirReg, .Lfunc_end0-fft_rtc_fwd_len676_factors_13_13_4_wgs_52_tpt_52_dp_ip_CI_sbrr_dirReg
                                        ; -- End function
	.section	.AMDGPU.csdata,"",@progbits
; Kernel info:
; codeLenInByte = 11916
; NumSgprs: 48
; NumVgprs: 126
; ScratchSize: 0
; MemoryBound: 1
; FloatMode: 240
; IeeeMode: 1
; LDSByteSize: 0 bytes/workgroup (compile time only)
; SGPRBlocks: 5
; VGPRBlocks: 31
; NumSGPRsForWavesPerEU: 48
; NumVGPRsForWavesPerEU: 126
; Occupancy: 2
; WaveLimiterHint : 1
; COMPUTE_PGM_RSRC2:SCRATCH_EN: 0
; COMPUTE_PGM_RSRC2:USER_SGPR: 6
; COMPUTE_PGM_RSRC2:TRAP_HANDLER: 0
; COMPUTE_PGM_RSRC2:TGID_X_EN: 1
; COMPUTE_PGM_RSRC2:TGID_Y_EN: 0
; COMPUTE_PGM_RSRC2:TGID_Z_EN: 0
; COMPUTE_PGM_RSRC2:TIDIG_COMP_CNT: 0
	.type	__hip_cuid_7814ed2375bae0bb,@object ; @__hip_cuid_7814ed2375bae0bb
	.section	.bss,"aw",@nobits
	.globl	__hip_cuid_7814ed2375bae0bb
__hip_cuid_7814ed2375bae0bb:
	.byte	0                               ; 0x0
	.size	__hip_cuid_7814ed2375bae0bb, 1

	.ident	"AMD clang version 19.0.0git (https://github.com/RadeonOpenCompute/llvm-project roc-6.4.0 25133 c7fe45cf4b819c5991fe208aaa96edf142730f1d)"
	.section	".note.GNU-stack","",@progbits
	.addrsig
	.addrsig_sym __hip_cuid_7814ed2375bae0bb
	.amdgpu_metadata
---
amdhsa.kernels:
  - .args:
      - .actual_access:  read_only
        .address_space:  global
        .offset:         0
        .size:           8
        .value_kind:     global_buffer
      - .offset:         8
        .size:           8
        .value_kind:     by_value
      - .actual_access:  read_only
        .address_space:  global
        .offset:         16
        .size:           8
        .value_kind:     global_buffer
      - .actual_access:  read_only
        .address_space:  global
        .offset:         24
        .size:           8
        .value_kind:     global_buffer
      - .offset:         32
        .size:           8
        .value_kind:     by_value
      - .actual_access:  read_only
        .address_space:  global
        .offset:         40
        .size:           8
        .value_kind:     global_buffer
      - .actual_access:  read_only
        .address_space:  global
        .offset:         48
        .size:           8
        .value_kind:     global_buffer
      - .offset:         56
        .size:           4
        .value_kind:     by_value
      - .actual_access:  read_only
        .address_space:  global
        .offset:         64
        .size:           8
        .value_kind:     global_buffer
      - .actual_access:  read_only
        .address_space:  global
        .offset:         72
        .size:           8
        .value_kind:     global_buffer
      - .address_space:  global
        .offset:         80
        .size:           8
        .value_kind:     global_buffer
    .group_segment_fixed_size: 0
    .kernarg_segment_align: 8
    .kernarg_segment_size: 88
    .language:       OpenCL C
    .language_version:
      - 2
      - 0
    .max_flat_workgroup_size: 52
    .name:           fft_rtc_fwd_len676_factors_13_13_4_wgs_52_tpt_52_dp_ip_CI_sbrr_dirReg
    .private_segment_fixed_size: 0
    .sgpr_count:     48
    .sgpr_spill_count: 0
    .symbol:         fft_rtc_fwd_len676_factors_13_13_4_wgs_52_tpt_52_dp_ip_CI_sbrr_dirReg.kd
    .uniform_work_group_size: 1
    .uses_dynamic_stack: false
    .vgpr_count:     126
    .vgpr_spill_count: 0
    .wavefront_size: 64
amdhsa.target:   amdgcn-amd-amdhsa--gfx906
amdhsa.version:
  - 1
  - 2
...

	.end_amdgpu_metadata
